;; amdgpu-corpus repo=ROCm/rocFFT kind=compiled arch=gfx90a opt=O3
	.text
	.amdgcn_target "amdgcn-amd-amdhsa--gfx90a"
	.amdhsa_code_object_version 6
	.protected	bluestein_single_fwd_len4096_dim1_dp_op_CI_CI ; -- Begin function bluestein_single_fwd_len4096_dim1_dp_op_CI_CI
	.globl	bluestein_single_fwd_len4096_dim1_dp_op_CI_CI
	.p2align	8
	.type	bluestein_single_fwd_len4096_dim1_dp_op_CI_CI,@function
bluestein_single_fwd_len4096_dim1_dp_op_CI_CI: ; @bluestein_single_fwd_len4096_dim1_dp_op_CI_CI
; %bb.0:
	s_load_dwordx4 s[16:19], s[4:5], 0x28
	s_mov_b32 s7, 0
	s_waitcnt lgkmcnt(0)
	v_mov_b32_e32 v2, s16
	v_mov_b32_e32 v3, s17
	v_cmp_lt_u64_e32 vcc, s[6:7], v[2:3]
	s_and_saveexec_b64 s[0:1], vcc
	s_cbranch_execz .LBB0_2
; %bb.1:
	s_load_dwordx4 s[0:3], s[4:5], 0x18
	s_load_dwordx4 s[8:11], s[4:5], 0x0
	v_pk_mov_b32 v[222:223], s[6:7], s[6:7] op_sel:[0,1]
	v_mov_b32_e32 v1, s19
	s_mov_b32 s6, 0x667f3bcd
	s_waitcnt lgkmcnt(0)
	s_load_dwordx4 s[12:15], s[0:1], 0x0
	s_add_u32 s20, s8, 0x10000
	s_addc_u32 s21, s9, 0
	s_mov_b32 s7, 0xbfe6a09e
	s_mov_b32 s16, 0xcf328d46
	s_waitcnt lgkmcnt(0)
	v_mad_u64_u32 v[2:3], s[0:1], s14, v222, 0
	v_mov_b32_e32 v6, v3
	v_mad_u64_u32 v[4:5], s[0:1], s12, v0, 0
	v_mad_u64_u32 v[6:7], s[0:1], s15, v222, v[6:7]
	v_mov_b32_e32 v3, v6
	v_mov_b32_e32 v6, v5
	v_mad_u64_u32 v[6:7], s[0:1], s13, v0, v[6:7]
	v_lshlrev_b64 v[2:3], 4, v[2:3]
	v_mov_b32_e32 v5, v6
	v_add_co_u32_e32 v6, vcc, s18, v2
	v_addc_co_u32_e32 v1, vcc, v1, v3, vcc
	v_lshlrev_b64 v[2:3], 4, v[4:5]
	v_add_co_u32_e32 v2, vcc, v6, v2
	v_addc_co_u32_e32 v3, vcc, v1, v3, vcc
	v_lshlrev_b32_e32 v1, 4, v0
	s_lshl_b64 s[0:1], s[12:13], 12
	global_load_dwordx4 v[66:69], v[2:3], off
	global_load_dwordx4 v[30:33], v1, s[8:9]
	v_mov_b32_e32 v4, s1
	v_add_co_u32_e32 v2, vcc, s0, v2
	v_addc_co_u32_e32 v3, vcc, v3, v4, vcc
	v_or_b32_e32 v190, 0x1000, v1
	global_load_dwordx4 v[58:61], v190, s[8:9]
	global_load_dwordx4 v[70:73], v[2:3], off
	v_add_co_u32_e32 v6, vcc, s0, v2
	v_addc_co_u32_e32 v7, vcc, v3, v4, vcc
	global_load_dwordx4 v[74:77], v[6:7], off
	v_or_b32_e32 v192, 0x2000, v1
	global_load_dwordx4 v[134:137], v192, s[8:9]
	v_add_co_u32_e32 v6, vcc, s0, v6
	v_addc_co_u32_e32 v7, vcc, v7, v4, vcc
	v_or_b32_e32 v194, 0x3000, v1
	global_load_dwordx4 v[78:81], v[6:7], off
	global_load_dwordx4 v[62:65], v194, s[8:9]
	v_add_co_u32_e32 v10, vcc, s0, v6
	v_addc_co_u32_e32 v11, vcc, v7, v4, vcc
	v_or_b32_e32 v193, 0x4000, v1
	global_load_dwordx4 v[82:85], v[10:11], off
	;; [unrolled: 5-line block ×8, first 2 shown]
	global_load_dwordx4 v[18:21], v227, s[8:9]
	v_add_co_u32_e32 v22, vcc, s0, v22
	v_addc_co_u32_e32 v23, vcc, v23, v4, vcc
	v_or_b32_e32 v226, 0xb000, v1
	global_load_dwordx4 v[46:49], v226, s[8:9]
	global_load_dwordx4 v[110:113], v[22:23], off
	v_add_co_u32_e32 v26, vcc, s0, v22
	v_addc_co_u32_e32 v27, vcc, v23, v4, vcc
	v_or_b32_e32 v225, 0xc000, v1
	global_load_dwordx4 v[114:117], v[26:27], off
	global_load_dwordx4 v[22:25], v225, s[8:9]
	v_add_co_u32_e32 v26, vcc, s0, v26
	v_addc_co_u32_e32 v27, vcc, v27, v4, vcc
	v_or_b32_e32 v229, 0xd000, v1
	global_load_dwordx4 v[118:121], v[26:27], off
	global_load_dwordx4 v[50:53], v229, s[8:9]
	;; [unrolled: 5-line block ×3, first 2 shown]
	v_add_co_u32_e32 v54, vcc, s0, v54
	v_addc_co_u32_e32 v55, vcc, v55, v4, vcc
	v_or_b32_e32 v231, 0xf000, v1
	global_load_dwordx4 v[126:129], v[54:55], off
	s_waitcnt vmcnt(29)
	v_mul_f64 v[130:131], v[68:69], v[32:33]
	global_load_dwordx4 v[54:57], v231, s[8:9]
	v_fmac_f64_e32 v[130:131], v[66:67], v[30:31]
	v_mul_f64 v[66:67], v[66:67], v[32:33]
	v_fma_f64 v[132:133], v[68:69], v[30:31], -v[66:67]
	s_waitcnt vmcnt(28)
	v_mul_f64 v[66:67], v[72:73], v[60:61]
	v_mul_f64 v[68:69], v[70:71], v[60:61]
	v_fmac_f64_e32 v[66:67], v[70:71], v[58:59]
	v_fma_f64 v[68:69], v[72:73], v[58:59], -v[68:69]
	ds_write_b128 v1, v[66:69] offset:4096
	s_waitcnt vmcnt(26)
	v_mul_f64 v[66:67], v[76:77], v[136:137]
	v_mul_f64 v[68:69], v[74:75], v[136:137]
	v_fmac_f64_e32 v[66:67], v[74:75], v[134:135]
	v_fma_f64 v[68:69], v[76:77], v[134:135], -v[68:69]
	ds_write_b128 v1, v[66:69] offset:8192
	;; [unrolled: 6-line block ×12, first 2 shown]
	s_load_dwordx4 s[0:3], s[2:3], 0x0
	s_waitcnt vmcnt(4)
	v_mul_f64 v[66:67], v[120:121], v[52:53]
	v_mul_f64 v[68:69], v[118:119], v[52:53]
	v_fmac_f64_e32 v[66:67], v[118:119], v[50:51]
	v_fma_f64 v[68:69], v[120:121], v[50:51], -v[68:69]
	ds_write_b128 v1, v[66:69] offset:53248
	ds_write_b128 v1, v[130:133]
	s_mov_b32 s9, 0x3fe6a09e
	s_waitcnt vmcnt(2)
	v_mul_f64 v[66:67], v[124:125], v[28:29]
	v_mul_f64 v[68:69], v[122:123], v[28:29]
	v_fmac_f64_e32 v[66:67], v[122:123], v[26:27]
	v_fma_f64 v[68:69], v[124:125], v[26:27], -v[68:69]
	ds_write_b128 v1, v[66:69] offset:57344
	s_mov_b32 s8, s6
	v_accvgpr_write_b32 a16, v134
	v_accvgpr_write_b32 a17, v135
	s_waitcnt vmcnt(0)
	v_mul_f64 v[66:67], v[128:129], v[56:57]
	v_mul_f64 v[68:69], v[126:127], v[56:57]
	v_fmac_f64_e32 v[66:67], v[126:127], v[54:55]
	v_fma_f64 v[68:69], v[128:129], v[54:55], -v[68:69]
	ds_write_b128 v1, v[66:69] offset:61440
	s_waitcnt lgkmcnt(0)
	s_barrier
	ds_read_b128 v[66:69], v1
	ds_read_b128 v[70:73], v1 offset:4096
	ds_read_b128 v[74:77], v1 offset:8192
	;; [unrolled: 1-line block ×15, first 2 shown]
	s_waitcnt lgkmcnt(7)
	v_add_f64 v[100:101], v[68:69], -v[100:101]
	s_waitcnt lgkmcnt(3)
	v_add_f64 v[116:117], v[84:85], -v[116:117]
	v_add_f64 v[106:107], v[74:75], -v[106:107]
	s_waitcnt lgkmcnt(1)
	v_add_f64 v[122:123], v[90:91], -v[122:123]
	v_add_f64 v[104:105], v[72:73], -v[104:105]
	;; [unrolled: 1-line block ×4, first 2 shown]
	s_waitcnt lgkmcnt(0)
	v_add_f64 v[126:127], v[94:95], -v[126:127]
	v_add_f64 v[98:99], v[66:67], -v[98:99]
	v_fma_f64 v[68:69], v[68:69], 2.0, -v[100:101]
	v_add_f64 v[114:115], v[82:83], -v[114:115]
	v_fma_f64 v[84:85], v[84:85], 2.0, -v[116:117]
	;; [unrolled: 2-line block ×8, first 2 shown]
	v_fma_f64 v[66:67], v[66:67], 2.0, -v[98:99]
	v_fma_f64 v[82:83], v[82:83], 2.0, -v[114:115]
	v_fma_f64 v[76:77], v[76:77], 2.0, -v[108:109]
	v_fma_f64 v[92:93], v[92:93], 2.0, -v[124:125]
	v_fma_f64 v[70:71], v[70:71], 2.0, -v[102:103]
	v_fma_f64 v[86:87], v[86:87], 2.0, -v[118:119]
	v_fma_f64 v[80:81], v[80:81], 2.0, -v[112:113]
	v_fma_f64 v[96:97], v[96:97], 2.0, -v[128:129]
	v_add_f64 v[84:85], v[68:69], -v[84:85]
	v_add_f64 v[90:91], v[74:75], -v[90:91]
	;; [unrolled: 1-line block ×6, first 2 shown]
	v_add_f64 v[114:115], v[100:101], v[114:115]
	v_add_f64 v[92:93], v[76:77], -v[92:93]
	v_add_f64 v[124:125], v[106:107], -v[124:125]
	v_add_f64 v[122:123], v[108:109], v[122:123]
	v_add_f64 v[86:87], v[70:71], -v[86:87]
	v_add_f64 v[118:119], v[104:105], v[118:119]
	;; [unrolled: 2-line block ×3, first 2 shown]
	v_add_f64 v[140:141], v[84:85], v[90:91]
	v_add_f64 v[148:149], v[88:89], v[94:95]
	v_fma_f64 v[98:99], v[98:99], 2.0, -v[116:117]
	v_fma_f64 v[100:101], v[100:101], 2.0, -v[114:115]
	;; [unrolled: 1-line block ×6, first 2 shown]
	v_add_f64 v[120:121], v[102:103], -v[120:121]
	v_add_f64 v[128:129], v[110:111], -v[128:129]
	;; [unrolled: 1-line block ×3, first 2 shown]
	v_fma_f64 v[92:93], v[84:85], 2.0, -v[140:141]
	v_fma_f64 v[142:143], s[8:9], v[124:125], v[116:117]
	v_fma_f64 v[144:145], s[8:9], v[122:123], v[114:115]
	v_add_f64 v[146:147], v[86:87], -v[96:97]
	v_fma_f64 v[88:89], v[88:89], 2.0, -v[148:149]
	v_fma_f64 v[152:153], s[8:9], v[126:127], v[118:119]
	v_accvgpr_write_b32 a18, v136
	v_accvgpr_write_b32 a19, v137
	v_fma_f64 v[66:67], v[66:67], 2.0, -v[82:83]
	v_fma_f64 v[68:69], v[68:69], 2.0, -v[84:85]
	;; [unrolled: 1-line block ×10, first 2 shown]
	v_fma_f64 v[134:135], s[6:7], v[106:107], v[98:99]
	v_fma_f64 v[136:137], s[6:7], v[108:109], v[100:101]
	v_fma_f64 v[90:91], v[82:83], 2.0, -v[138:139]
	v_fmac_f64_e32 v[142:143], s[6:7], v[122:123]
	v_fmac_f64_e32 v[144:145], s[8:9], v[124:125]
	v_fma_f64 v[86:87], v[86:87], 2.0, -v[146:147]
	v_fma_f64 v[150:151], s[8:9], v[128:129], v[120:121]
	v_fmac_f64_e32 v[152:153], s[8:9], v[128:129]
	s_mov_b32 s12, 0xa6aea964
	v_fma_f64 v[84:85], s[6:7], v[88:89], v[92:93]
	v_add_f64 v[130:131], v[66:67], -v[74:75]
	v_add_f64 v[132:133], v[68:69], -v[76:77]
	v_fmac_f64_e32 v[134:135], s[6:7], v[108:109]
	v_fmac_f64_e32 v[136:137], s[8:9], v[106:107]
	v_fma_f64 v[106:107], v[116:117], 2.0, -v[142:143]
	v_fma_f64 v[108:109], v[114:115], 2.0, -v[144:145]
	v_add_f64 v[114:115], v[70:71], -v[78:79]
	v_add_f64 v[116:117], v[72:73], -v[80:81]
	v_fma_f64 v[122:123], s[6:7], v[110:111], v[102:103]
	v_fma_f64 v[124:125], s[6:7], v[112:113], v[104:105]
	v_fmac_f64_e32 v[150:151], s[6:7], v[126:127]
	v_fma_f64 v[96:97], v[118:119], 2.0, -v[152:153]
	s_mov_b32 s13, 0xbfd87de2
	v_fma_f64 v[82:83], s[6:7], v[86:87], v[90:91]
	v_fmac_f64_e32 v[84:85], s[8:9], v[86:87]
	v_fma_f64 v[74:75], v[66:67], 2.0, -v[130:131]
	v_fma_f64 v[76:77], v[68:69], 2.0, -v[132:133]
	;; [unrolled: 1-line block ×4, first 2 shown]
	v_fmac_f64_e32 v[122:123], s[6:7], v[112:113]
	v_fmac_f64_e32 v[124:125], s[8:9], v[110:111]
	v_fma_f64 v[94:95], v[120:121], 2.0, -v[150:151]
	s_mov_b32 s17, 0xbfed906b
	v_fmac_f64_e32 v[82:83], s[6:7], v[88:89]
	v_fma_f64 v[88:89], v[92:93], 2.0, -v[84:85]
	v_fma_f64 v[92:93], s[12:13], v[96:97], v[108:109]
	s_mov_b32 s19, 0x3fed906b
	s_mov_b32 s18, s16
	v_fma_f64 v[98:99], v[98:99], 2.0, -v[134:135]
	v_fma_f64 v[100:101], v[100:101], 2.0, -v[136:137]
	;; [unrolled: 1-line block ×4, first 2 shown]
	v_add_f64 v[66:67], v[74:75], -v[66:67]
	v_add_f64 v[68:69], v[76:77], -v[68:69]
	s_mov_b32 s15, 0x3fd87de2
	s_mov_b32 s14, s12
	v_fma_f64 v[86:87], v[90:91], 2.0, -v[82:83]
	v_fma_f64 v[90:91], s[12:13], v[94:95], v[106:107]
	v_fmac_f64_e32 v[92:93], s[18:19], v[94:95]
	v_fma_f64 v[70:71], v[74:75], 2.0, -v[66:67]
	v_fma_f64 v[72:73], v[76:77], 2.0, -v[68:69]
	v_fma_f64 v[74:75], s[16:17], v[78:79], v[98:99]
	v_fma_f64 v[76:77], s[16:17], v[80:81], v[100:101]
	v_fmac_f64_e32 v[90:91], s[16:17], v[96:97]
	v_fma_f64 v[96:97], v[108:109], 2.0, -v[92:93]
	v_fma_f64 v[108:109], s[14:15], v[124:125], v[136:137]
	v_fmac_f64_e32 v[74:75], s[12:13], v[80:81]
	v_fmac_f64_e32 v[76:77], s[14:15], v[78:79]
	v_fma_f64 v[94:95], v[106:107], 2.0, -v[90:91]
	v_fma_f64 v[106:107], s[14:15], v[122:123], v[134:135]
	v_fmac_f64_e32 v[108:109], s[18:19], v[122:123]
	v_fma_f64 v[122:123], s[18:19], v[150:151], v[142:143]
	v_fma_f64 v[78:79], v[98:99], 2.0, -v[74:75]
	v_fma_f64 v[80:81], v[100:101], 2.0, -v[76:77]
	v_add_f64 v[98:99], v[130:131], -v[116:117]
	v_add_f64 v[100:101], v[132:133], v[114:115]
	v_fmac_f64_e32 v[106:107], s[16:17], v[124:125]
	v_fma_f64 v[114:115], s[8:9], v[146:147], v[138:139]
	v_fma_f64 v[116:117], s[8:9], v[148:149], v[140:141]
	;; [unrolled: 1-line block ×3, first 2 shown]
	v_fmac_f64_e32 v[122:123], s[12:13], v[152:153]
	v_fmac_f64_e32 v[114:115], s[6:7], v[148:149]
	;; [unrolled: 1-line block ×4, first 2 shown]
	v_fma_f64 v[126:127], v[142:143], 2.0, -v[122:123]
	v_lshlrev_b32_e32 v223, 8, v0
	v_fma_f64 v[102:103], v[130:131], 2.0, -v[98:99]
	v_fma_f64 v[104:105], v[132:133], 2.0, -v[100:101]
	;; [unrolled: 1-line block ×7, first 2 shown]
	s_barrier
	ds_write_b128 v223, v[70:73]
	ds_write_b128 v223, v[78:81] offset:16
	ds_write_b128 v223, v[86:89] offset:32
	;; [unrolled: 1-line block ×15, first 2 shown]
	v_and_b32_e32 v2, 15, v0
	s_movk_i32 s22, 0xf0
	v_pk_mov_b32 v[126:127], s[10:11], s[10:11] op_sel:[0,1]
	v_mad_u64_u32 v[114:115], s[10:11], v2, s22, v[126:127]
	s_waitcnt lgkmcnt(0)
	s_barrier
	global_load_dwordx4 v[78:81], v[114:115], off
	global_load_dwordx4 v[74:77], v[114:115], off offset:16
	global_load_dwordx4 v[70:73], v[114:115], off offset:32
	;; [unrolled: 1-line block ×13, first 2 shown]
	s_nop 0
	global_load_dwordx4 v[114:117], v[114:115], off offset:224
	ds_read_b128 v[128:131], v1
	ds_read_b128 v[132:135], v1 offset:4096
	ds_read_b128 v[136:139], v1 offset:8192
	;; [unrolled: 1-line block ×15, first 2 shown]
	v_or_b32_e32 v2, v1, v0
	v_and_b32_e32 v2, 0xf0f, v2
	v_lshlrev_b32_e32 v224, 4, v2
	s_waitcnt lgkmcnt(0)
	s_barrier
	v_accvgpr_write_b32 a4, v14
	v_accvgpr_write_b32 a15, v9
	;; [unrolled: 1-line block ×16, first 2 shown]
	s_load_dwordx2 s[4:5], s[4:5], 0x38
	s_waitcnt vmcnt(14)
	v_mul_f64 v[188:189], v[134:135], v[80:81]
	v_fma_f64 v[188:189], v[132:133], v[78:79], -v[188:189]
	v_mul_f64 v[132:133], v[132:133], v[80:81]
	v_fmac_f64_e32 v[132:133], v[134:135], v[78:79]
	s_waitcnt vmcnt(13)
	v_mul_f64 v[134:135], v[138:139], v[76:77]
	v_fma_f64 v[134:135], v[136:137], v[74:75], -v[134:135]
	v_mul_f64 v[136:137], v[136:137], v[76:77]
	v_fmac_f64_e32 v[136:137], v[138:139], v[74:75]
	;; [unrolled: 5-line block ×15, first 2 shown]
	v_add_f64 v[158:159], v[128:129], -v[158:159]
	v_add_f64 v[160:161], v[130:131], -v[160:161]
	;; [unrolled: 1-line block ×16, first 2 shown]
	v_fma_f64 v[128:129], v[128:129], 2.0, -v[158:159]
	v_fma_f64 v[130:131], v[130:131], 2.0, -v[160:161]
	;; [unrolled: 1-line block ×16, first 2 shown]
	v_add_f64 v[176:177], v[158:159], -v[176:177]
	v_add_f64 v[174:175], v[160:161], v[174:175]
	v_add_f64 v[184:185], v[166:167], -v[184:185]
	v_add_f64 v[182:183], v[168:169], v[182:183]
	v_add_f64 v[142:143], v[128:129], -v[142:143]
	v_add_f64 v[144:145], v[130:131], -v[144:145]
	v_fma_f64 v[158:159], v[158:159], 2.0, -v[176:177]
	v_fma_f64 v[160:161], v[160:161], 2.0, -v[174:175]
	v_add_f64 v[150:151], v[134:135], -v[150:151]
	v_add_f64 v[152:153], v[136:137], -v[152:153]
	v_fma_f64 v[166:167], v[166:167], 2.0, -v[184:185]
	v_fma_f64 v[168:169], v[168:169], 2.0, -v[182:183]
	v_add_f64 v[146:147], v[188:189], -v[146:147]
	v_add_f64 v[148:149], v[132:133], -v[148:149]
	;; [unrolled: 1-line block ×6, first 2 shown]
	v_fma_f64 v[212:213], s[8:9], v[184:185], v[176:177]
	v_fma_f64 v[214:215], s[8:9], v[182:183], v[174:175]
	v_fma_f64 v[128:129], v[128:129], 2.0, -v[142:143]
	v_fma_f64 v[130:131], v[130:131], 2.0, -v[144:145]
	;; [unrolled: 1-line block ×6, first 2 shown]
	v_add_f64 v[178:179], v[164:165], v[178:179]
	v_fma_f64 v[162:163], v[162:163], 2.0, -v[180:181]
	v_fma_f64 v[138:139], v[138:139], 2.0, -v[154:155]
	;; [unrolled: 1-line block ×3, first 2 shown]
	v_add_f64 v[186:187], v[172:173], v[186:187]
	v_fma_f64 v[170:171], v[170:171], 2.0, -v[196:197]
	v_fma_f64 v[202:203], s[6:7], v[166:167], v[158:159]
	v_fma_f64 v[204:205], s[6:7], v[168:169], v[160:161]
	v_fmac_f64_e32 v[212:213], s[6:7], v[182:183]
	v_fmac_f64_e32 v[214:215], s[8:9], v[184:185]
	v_fma_f64 v[164:165], v[164:165], 2.0, -v[178:179]
	v_fma_f64 v[172:173], v[172:173], 2.0, -v[186:187]
	v_add_f64 v[198:199], v[128:129], -v[134:135]
	v_add_f64 v[200:201], v[130:131], -v[136:137]
	v_fmac_f64_e32 v[202:203], s[6:7], v[168:169]
	v_fmac_f64_e32 v[204:205], s[8:9], v[166:167]
	v_add_f64 v[210:211], v[144:145], v[150:151]
	v_fma_f64 v[166:167], v[176:177], 2.0, -v[212:213]
	v_fma_f64 v[168:169], v[174:175], 2.0, -v[214:215]
	v_add_f64 v[174:175], v[188:189], -v[138:139]
	v_add_f64 v[176:177], v[132:133], -v[140:141]
	v_fma_f64 v[182:183], s[6:7], v[170:171], v[162:163]
	v_add_f64 v[216:217], v[148:149], v[154:155]
	v_fma_f64 v[220:221], s[8:9], v[186:187], v[178:179]
	v_fma_f64 v[134:135], v[128:129], 2.0, -v[198:199]
	v_fma_f64 v[136:137], v[130:131], 2.0, -v[200:201]
	v_add_f64 v[208:209], v[142:143], -v[152:153]
	v_fma_f64 v[152:153], v[144:145], 2.0, -v[210:211]
	v_fma_f64 v[128:129], v[188:189], 2.0, -v[174:175]
	;; [unrolled: 1-line block ×3, first 2 shown]
	v_fma_f64 v[184:185], s[6:7], v[172:173], v[164:165]
	v_fmac_f64_e32 v[182:183], s[6:7], v[172:173]
	v_add_f64 v[188:189], v[146:147], -v[156:157]
	v_fma_f64 v[148:149], v[148:149], 2.0, -v[216:217]
	v_fma_f64 v[218:219], s[8:9], v[196:197], v[180:181]
	v_fmac_f64_e32 v[220:221], s[8:9], v[196:197]
	v_fma_f64 v[158:159], v[158:159], 2.0, -v[202:203]
	v_fma_f64 v[150:151], v[142:143], 2.0, -v[208:209]
	v_fmac_f64_e32 v[184:185], s[8:9], v[170:171]
	v_fma_f64 v[140:141], v[162:163], 2.0, -v[182:183]
	v_fma_f64 v[154:155], v[146:147], 2.0, -v[188:189]
	v_fmac_f64_e32 v[218:219], s[6:7], v[186:187]
	v_fma_f64 v[162:163], v[178:179], 2.0, -v[220:221]
	v_add_f64 v[128:129], v[134:135], -v[128:129]
	v_add_f64 v[130:131], v[136:137], -v[130:131]
	v_fma_f64 v[146:147], s[6:7], v[148:149], v[152:153]
	v_fma_f64 v[160:161], v[160:161], 2.0, -v[204:205]
	v_fma_f64 v[142:143], v[164:165], 2.0, -v[184:185]
	;; [unrolled: 1-line block ×5, first 2 shown]
	v_fma_f64 v[136:137], s[16:17], v[140:141], v[158:159]
	v_fma_f64 v[144:145], s[6:7], v[154:155], v[150:151]
	v_fmac_f64_e32 v[146:147], s[8:9], v[154:155]
	v_fma_f64 v[154:155], s[12:13], v[162:163], v[168:169]
	v_fma_f64 v[138:139], s[16:17], v[142:143], v[160:161]
	v_fmac_f64_e32 v[136:137], s[12:13], v[142:143]
	v_fmac_f64_e32 v[154:155], s[18:19], v[156:157]
	;; [unrolled: 1-line block ×3, first 2 shown]
	v_fma_f64 v[140:141], v[158:159], 2.0, -v[136:137]
	v_fmac_f64_e32 v[144:145], s[6:7], v[148:149]
	v_fma_f64 v[158:159], v[168:169], 2.0, -v[154:155]
	v_fma_f64 v[168:169], s[14:15], v[182:183], v[202:203]
	v_fma_f64 v[178:179], s[8:9], v[216:217], v[210:211]
	v_fma_f64 v[142:143], v[160:161], 2.0, -v[138:139]
	v_fma_f64 v[148:149], v[150:151], 2.0, -v[144:145]
	;; [unrolled: 1-line block ×3, first 2 shown]
	v_fma_f64 v[152:153], s[12:13], v[156:157], v[166:167]
	v_add_f64 v[160:161], v[198:199], -v[176:177]
	v_fma_f64 v[170:171], s[14:15], v[184:185], v[204:205]
	v_fmac_f64_e32 v[168:169], s[16:17], v[184:185]
	v_fma_f64 v[176:177], s[8:9], v[188:189], v[208:209]
	v_fmac_f64_e32 v[178:179], s[8:9], v[188:189]
	v_fma_f64 v[184:185], s[18:19], v[218:219], v[212:213]
	v_fma_f64 v[186:187], s[18:19], v[220:221], v[214:215]
	v_fmac_f64_e32 v[152:153], s[16:17], v[162:163]
	v_add_f64 v[162:163], v[200:201], v[174:175]
	v_fmac_f64_e32 v[170:171], s[18:19], v[182:183]
	v_fmac_f64_e32 v[176:177], s[6:7], v[216:217]
	v_fma_f64 v[182:183], v[210:211], 2.0, -v[178:179]
	v_fmac_f64_e32 v[184:185], s[12:13], v[220:221]
	v_fmac_f64_e32 v[186:187], s[14:15], v[218:219]
	v_fma_f64 v[156:157], v[166:167], 2.0, -v[152:153]
	v_fma_f64 v[164:165], v[198:199], 2.0, -v[160:161]
	;; [unrolled: 1-line block ×8, first 2 shown]
	ds_write_b128 v224, v[132:135]
	ds_write_b128 v224, v[140:143] offset:256
	ds_write_b128 v224, v[148:151] offset:512
	;; [unrolled: 1-line block ×15, first 2 shown]
	v_mad_u64_u32 v[182:183], s[10:11], v0, s22, v[126:127]
	s_waitcnt lgkmcnt(0)
	s_barrier
	global_load_dwordx4 v[138:141], v[182:183], off offset:3840
	global_load_dwordx4 v[134:137], v[182:183], off offset:3856
	;; [unrolled: 1-line block ×12, first 2 shown]
	ds_read_b128 v[174:177], v1 offset:4096
	ds_read_b128 v[178:181], v1 offset:8192
	;; [unrolled: 1-line block ×13, first 2 shown]
	s_waitcnt vmcnt(11) lgkmcnt(12)
	v_mul_f64 v[188:189], v[176:177], v[140:141]
	v_fma_f64 v[204:205], v[174:175], v[138:139], -v[188:189]
	v_mul_f64 v[220:221], v[174:175], v[140:141]
	s_waitcnt vmcnt(10) lgkmcnt(11)
	v_mul_f64 v[174:175], v[180:181], v[136:137]
	v_fma_f64 v[252:253], v[178:179], v[134:135], -v[174:175]
	s_waitcnt vmcnt(9) lgkmcnt(10)
	v_mul_f64 v[174:175], v[186:187], v[132:133]
	v_fma_f64 v[14:15], v[184:185], v[130:131], -v[174:175]
	;; [unrolled: 3-line block ×4, first 2 shown]
	s_waitcnt vmcnt(6) lgkmcnt(7)
	v_mul_f64 v[174:175], v[210:211], v[152:153]
	v_mul_f64 v[12:13], v[200:201], v[156:157]
	v_fma_f64 v[200:201], v[208:209], v[150:151], -v[174:175]
	s_waitcnt vmcnt(5) lgkmcnt(6)
	v_mul_f64 v[174:175], v[214:215], v[148:149]
	v_fmac_f64_e32 v[12:13], v[202:203], v[154:155]
	v_mul_f64 v[202:203], v[208:209], v[152:153]
	v_fma_f64 v[208:209], v[212:213], v[146:147], -v[174:175]
	s_waitcnt vmcnt(4) lgkmcnt(5)
	v_mul_f64 v[174:175], v[218:219], v[144:145]
	v_fmac_f64_e32 v[202:203], v[210:211], v[150:151]
	;; [unrolled: 5-line block ×6, first 2 shown]
	v_fmac_f64_e32 v[234:235], v[238:239], v[166:167]
	v_mul_f64 v[238:239], v[240:241], v[164:165]
	v_fma_f64 v[240:241], v[244:245], v[158:159], -v[174:175]
	global_load_dwordx4 v[174:177], v[182:183], off offset:4032
	v_mul_f64 v[254:255], v[178:179], v[136:137]
	v_fmac_f64_e32 v[254:255], v[180:181], v[134:135]
	v_fmac_f64_e32 v[238:239], v[242:243], v[162:163]
	v_mul_f64 v[242:243], v[244:245], v[160:161]
	v_mul_f64 v[4:5], v[184:185], v[132:133]
	;; [unrolled: 1-line block ×3, first 2 shown]
	v_fmac_f64_e32 v[4:5], v[186:187], v[130:131]
	v_fmac_f64_e32 v[8:9], v[198:199], v[126:127]
	;; [unrolled: 1-line block ×3, first 2 shown]
	v_add_f64 v[216:217], v[204:205], -v[216:217]
	v_add_f64 v[240:241], v[6:7], -v[240:241]
	;; [unrolled: 1-line block ×6, first 2 shown]
	v_fma_f64 v[204:205], v[204:205], 2.0, -v[216:217]
	v_add_f64 v[236:237], v[14:15], -v[236:237]
	v_add_f64 v[238:239], v[4:5], -v[238:239]
	v_fma_f64 v[6:7], v[6:7], 2.0, -v[240:241]
	v_fma_f64 v[8:9], v[8:9], 2.0, -v[242:243]
	;; [unrolled: 1-line block ×5, first 2 shown]
	s_waitcnt vmcnt(0) lgkmcnt(0)
	v_mul_f64 v[178:179], v[250:251], v[176:177]
	v_fma_f64 v[244:245], v[248:249], v[174:175], -v[178:179]
	global_load_dwordx4 v[178:181], v[182:183], off offset:4048
	ds_read_b128 v[184:187], v1 offset:57344
	ds_read_b128 v[196:199], v1 offset:61440
	v_mul_f64 v[246:247], v[248:249], v[176:177]
	v_fmac_f64_e32 v[246:247], v[250:251], v[174:175]
	v_add_f64 v[244:245], v[10:11], -v[244:245]
	v_add_f64 v[246:247], v[12:13], -v[246:247]
	v_fma_f64 v[10:11], v[10:11], 2.0, -v[244:245]
	v_fma_f64 v[12:13], v[12:13], 2.0, -v[246:247]
	v_add_f64 v[10:11], v[204:205], -v[10:11]
	v_add_f64 v[12:13], v[220:221], -v[12:13]
	v_add_f64 v[244:245], v[218:219], v[244:245]
	s_waitcnt vmcnt(0) lgkmcnt(1)
	v_mul_f64 v[188:189], v[186:187], v[180:181]
	v_fma_f64 v[248:249], v[184:185], v[178:179], -v[188:189]
	v_mul_f64 v[250:251], v[184:185], v[180:181]
	global_load_dwordx4 v[182:185], v[182:183], off offset:4064
	v_fmac_f64_e32 v[250:251], v[186:187], v[178:179]
	v_add_f64 v[248:249], v[200:201], -v[248:249]
	v_add_f64 v[250:251], v[202:203], -v[250:251]
	v_fma_f64 v[200:201], v[200:201], 2.0, -v[248:249]
	v_fma_f64 v[202:203], v[202:203], 2.0, -v[250:251]
	s_waitcnt vmcnt(0) lgkmcnt(0)
	v_mul_f64 v[186:187], v[198:199], v[184:185]
	v_fma_f64 v[2:3], v[196:197], v[182:183], -v[186:187]
	ds_read_b128 v[186:189], v1
	v_mul_f64 v[16:17], v[196:197], v[184:185]
	v_fmac_f64_e32 v[16:17], v[198:199], v[182:183]
	v_add_f64 v[18:19], v[208:209], -v[2:3]
	v_add_f64 v[16:17], v[210:211], -v[16:17]
	s_waitcnt lgkmcnt(0)
	v_add_f64 v[212:213], v[186:187], -v[212:213]
	v_add_f64 v[214:215], v[188:189], -v[214:215]
	v_fma_f64 v[186:187], v[186:187], 2.0, -v[212:213]
	v_fma_f64 v[188:189], v[188:189], 2.0, -v[214:215]
	;; [unrolled: 1-line block ×6, first 2 shown]
	v_add_f64 v[6:7], v[186:187], -v[6:7]
	v_add_f64 v[8:9], v[188:189], -v[8:9]
	;; [unrolled: 1-line block ×4, first 2 shown]
	v_fma_f64 v[200:201], v[204:205], 2.0, -v[10:11]
	v_add_f64 v[204:205], v[14:15], -v[208:209]
	v_add_f64 v[208:209], v[4:5], -v[210:211]
	v_fma_f64 v[186:187], v[186:187], 2.0, -v[6:7]
	v_fma_f64 v[188:189], v[188:189], 2.0, -v[8:9]
	;; [unrolled: 1-line block ×7, first 2 shown]
	v_add_f64 v[220:221], v[186:187], -v[196:197]
	v_add_f64 v[2:3], v[188:189], -v[198:199]
	;; [unrolled: 1-line block ×4, first 2 shown]
	v_fma_f64 v[20:21], v[186:187], 2.0, -v[220:221]
	v_fma_f64 v[198:199], v[188:189], 2.0, -v[2:3]
	;; [unrolled: 1-line block ×4, first 2 shown]
	v_add_f64 v[186:187], v[20:21], -v[186:187]
	v_add_f64 v[188:189], v[198:199], -v[188:189]
	v_fma_f64 v[196:197], v[20:21], 2.0, -v[186:187]
	v_fma_f64 v[198:199], v[198:199], 2.0, -v[188:189]
	v_add_f64 v[20:21], v[212:213], -v[242:243]
	v_add_f64 v[240:241], v[214:215], v[240:241]
	ds_write_b128 v1, v[196:199]
	v_fma_f64 v[196:197], v[212:213], 2.0, -v[20:21]
	v_fma_f64 v[198:199], v[214:215], 2.0, -v[240:241]
	v_add_f64 v[212:213], v[232:233], -v[250:251]
	v_add_f64 v[214:215], v[234:235], v[248:249]
	v_fma_f64 v[200:201], v[232:233], 2.0, -v[212:213]
	v_fma_f64 v[202:203], v[234:235], 2.0, -v[214:215]
	v_fma_f64 v[232:233], s[6:7], v[200:201], v[196:197]
	v_fma_f64 v[234:235], s[6:7], v[202:203], v[198:199]
	v_add_f64 v[242:243], v[216:217], -v[246:247]
	v_add_f64 v[16:17], v[236:237], -v[16:17]
	v_add_f64 v[18:19], v[238:239], v[18:19]
	v_fmac_f64_e32 v[232:233], s[6:7], v[202:203]
	v_fmac_f64_e32 v[234:235], s[8:9], v[200:201]
	v_fma_f64 v[200:201], v[216:217], 2.0, -v[242:243]
	v_fma_f64 v[202:203], v[218:219], 2.0, -v[244:245]
	;; [unrolled: 1-line block ×4, first 2 shown]
	v_fma_f64 v[236:237], s[6:7], v[210:211], v[200:201]
	v_fma_f64 v[238:239], s[6:7], v[216:217], v[202:203]
	v_fmac_f64_e32 v[236:237], s[6:7], v[216:217]
	v_fmac_f64_e32 v[238:239], s[8:9], v[210:211]
	v_fma_f64 v[210:211], v[196:197], 2.0, -v[232:233]
	v_fma_f64 v[216:217], v[198:199], 2.0, -v[234:235]
	;; [unrolled: 1-line block ×4, first 2 shown]
	v_fma_f64 v[196:197], s[16:17], v[200:201], v[210:211]
	v_fma_f64 v[198:199], s[16:17], v[202:203], v[216:217]
	v_fmac_f64_e32 v[196:197], s[12:13], v[202:203]
	v_fmac_f64_e32 v[198:199], s[14:15], v[200:201]
	v_add_f64 v[246:247], v[6:7], -v[254:255]
	v_add_f64 v[248:249], v[8:9], v[252:253]
	v_add_f64 v[250:251], v[10:11], -v[208:209]
	v_add_f64 v[204:205], v[12:13], v[204:205]
	v_fma_f64 v[200:201], v[210:211], 2.0, -v[196:197]
	v_fma_f64 v[202:203], v[216:217], 2.0, -v[198:199]
	;; [unrolled: 1-line block ×6, first 2 shown]
	ds_write_b128 v1, v[200:203] offset:4096
	v_fma_f64 v[200:201], s[6:7], v[10:11], v[6:7]
	v_fma_f64 v[202:203], s[6:7], v[12:13], v[8:9]
	v_fmac_f64_e32 v[200:201], s[6:7], v[12:13]
	v_fmac_f64_e32 v[202:203], s[8:9], v[10:11]
	v_fma_f64 v[208:209], v[6:7], 2.0, -v[200:201]
	v_fma_f64 v[210:211], v[8:9], 2.0, -v[202:203]
	v_fma_f64 v[6:7], s[8:9], v[212:213], v[20:21]
	v_fma_f64 v[8:9], s[8:9], v[214:215], v[240:241]
	v_fma_f64 v[10:11], s[8:9], v[16:17], v[242:243]
	v_fma_f64 v[12:13], s[8:9], v[18:19], v[244:245]
	v_fmac_f64_e32 v[6:7], s[6:7], v[214:215]
	v_fmac_f64_e32 v[8:9], s[8:9], v[212:213]
	v_fmac_f64_e32 v[10:11], s[6:7], v[18:19]
	v_fmac_f64_e32 v[12:13], s[8:9], v[16:17]
	v_fma_f64 v[16:17], v[20:21], 2.0, -v[6:7]
	v_fma_f64 v[18:19], v[240:241], 2.0, -v[8:9]
	v_fma_f64 v[20:21], v[242:243], 2.0, -v[10:11]
	v_fma_f64 v[212:213], v[244:245], 2.0, -v[12:13]
	ds_write_b128 v1, v[208:211] offset:8192
	v_fma_f64 v[208:209], s[12:13], v[20:21], v[16:17]
	v_fma_f64 v[210:211], s[12:13], v[212:213], v[18:19]
	v_fmac_f64_e32 v[208:209], s[16:17], v[212:213]
	v_fmac_f64_e32 v[210:211], s[18:19], v[20:21]
	v_fma_f64 v[212:213], v[16:17], 2.0, -v[208:209]
	v_fma_f64 v[214:215], v[18:19], 2.0, -v[210:211]
	ds_write_b128 v1, v[212:215] offset:12288
	v_add_f64 v[212:213], v[220:221], -v[4:5]
	v_add_f64 v[214:215], v[2:3], v[14:15]
	v_fma_f64 v[216:217], v[220:221], 2.0, -v[212:213]
	v_fma_f64 v[218:219], v[2:3], 2.0, -v[214:215]
	ds_write_b128 v1, v[216:219] offset:16384
	v_fma_f64 v[218:219], s[14:15], v[238:239], v[234:235]
	v_fma_f64 v[216:217], s[14:15], v[236:237], v[232:233]
	v_fmac_f64_e32 v[218:219], s[18:19], v[236:237]
	v_fma_f64 v[236:237], s[8:9], v[250:251], v[246:247]
	v_fmac_f64_e32 v[236:237], s[6:7], v[204:205]
	v_fmac_f64_e32 v[216:217], s[16:17], v[238:239]
	v_fma_f64 v[238:239], s[8:9], v[204:205], v[248:249]
	v_fma_f64 v[240:241], v[246:247], 2.0, -v[236:237]
	v_fma_f64 v[244:245], s[18:19], v[10:11], v[6:7]
	v_fma_f64 v[246:247], s[18:19], v[12:13], v[8:9]
	v_fma_f64 v[232:233], v[232:233], 2.0, -v[216:217]
	v_fma_f64 v[234:235], v[234:235], 2.0, -v[218:219]
	v_fmac_f64_e32 v[238:239], s[8:9], v[250:251]
	v_fmac_f64_e32 v[244:245], s[12:13], v[12:13]
	;; [unrolled: 1-line block ×3, first 2 shown]
	v_fma_f64 v[242:243], v[248:249], 2.0, -v[238:239]
	v_fma_f64 v[248:249], v[6:7], 2.0, -v[244:245]
	;; [unrolled: 1-line block ×3, first 2 shown]
	ds_write_b128 v1, v[232:235] offset:20480
	ds_write_b128 v1, v[240:243] offset:24576
	;; [unrolled: 1-line block ×11, first 2 shown]
	s_waitcnt lgkmcnt(0)
	s_barrier
	global_load_dwordx4 v[202:205], v1, s[20:21]
	global_load_dwordx4 v[218:221], v190, s[20:21]
	global_load_dwordx4 v[214:217], v192, s[20:21]
	global_load_dwordx4 v[210:213], v194, s[20:21]
	global_load_dwordx4 v[186:189], v193, s[20:21]
	global_load_dwordx4 v[198:201], v191, s[20:21]
	s_nop 0
	global_load_dwordx4 v[194:197], v195, s[20:21]
	s_nop 0
	global_load_dwordx4 v[190:193], v207, s[20:21]
	ds_read_b128 v[232:235], v1
	ds_read_b128 v[236:239], v1 offset:4096
	global_load_dwordx4 v[206:209], v206, s[20:21]
	ds_read_b128 v[244:247], v1 offset:8192
	s_waitcnt vmcnt(8) lgkmcnt(2)
	v_mul_f64 v[2:3], v[234:235], v[204:205]
	v_mul_f64 v[242:243], v[232:233], v[204:205]
	v_fma_f64 v[240:241], v[232:233], v[202:203], -v[2:3]
	v_fmac_f64_e32 v[242:243], v[234:235], v[202:203]
	global_load_dwordx4 v[202:205], v228, s[20:21]
	s_waitcnt vmcnt(8) lgkmcnt(1)
	v_mul_f64 v[2:3], v[238:239], v[220:221]
	v_mul_f64 v[234:235], v[236:237], v[220:221]
	v_fma_f64 v[232:233], v[236:237], v[218:219], -v[2:3]
	v_fmac_f64_e32 v[234:235], v[238:239], v[218:219]
	global_load_dwordx4 v[218:221], v227, s[20:21]
	ds_read_b128 v[236:239], v1 offset:12288
	s_waitcnt vmcnt(8) lgkmcnt(1)
	v_mul_f64 v[2:3], v[246:247], v[216:217]
	v_mul_f64 v[250:251], v[244:245], v[216:217]
	v_fma_f64 v[248:249], v[244:245], v[214:215], -v[2:3]
	v_fmac_f64_e32 v[250:251], v[246:247], v[214:215]
	global_load_dwordx4 v[214:217], v226, s[20:21]
	s_waitcnt vmcnt(8) lgkmcnt(0)
	v_mul_f64 v[2:3], v[238:239], v[212:213]
	v_mul_f64 v[246:247], v[236:237], v[212:213]
	v_fma_f64 v[244:245], v[236:237], v[210:211], -v[2:3]
	v_fmac_f64_e32 v[246:247], v[238:239], v[210:211]
	global_load_dwordx4 v[210:213], v225, s[20:21]
	s_nop 0
	global_load_dwordx4 v[226:229], v229, s[20:21]
	s_nop 0
	global_load_dwordx4 v[236:239], v230, s[20:21]
	ds_write_b128 v1, v[240:243]
	global_load_dwordx4 v[240:243], v231, s[20:21]
	ds_write_b128 v1, v[232:235] offset:4096
	ds_read_b128 v[230:233], v1 offset:16384
	ds_write_b128 v1, v[248:251] offset:8192
	ds_write_b128 v1, v[244:247] offset:12288
	ds_read_b128 v[244:247], v1 offset:20480
	s_waitcnt vmcnt(11) lgkmcnt(3)
	v_mul_f64 v[2:3], v[232:233], v[188:189]
	v_mul_f64 v[250:251], v[230:231], v[188:189]
	v_fma_f64 v[248:249], v[230:231], v[186:187], -v[2:3]
	v_fmac_f64_e32 v[250:251], v[232:233], v[186:187]
	ds_read_b128 v[230:233], v1 offset:24576
	s_waitcnt vmcnt(10) lgkmcnt(1)
	v_mul_f64 v[2:3], v[246:247], v[200:201]
	v_mul_f64 v[188:189], v[244:245], v[200:201]
	v_fma_f64 v[186:187], v[244:245], v[198:199], -v[2:3]
	v_fmac_f64_e32 v[188:189], v[246:247], v[198:199]
	ds_write_b128 v1, v[186:189] offset:20480
	ds_read_b128 v[186:189], v1 offset:28672
	s_waitcnt vmcnt(9) lgkmcnt(2)
	v_mul_f64 v[2:3], v[232:233], v[196:197]
	v_mul_f64 v[200:201], v[230:231], v[196:197]
	v_fma_f64 v[198:199], v[230:231], v[194:195], -v[2:3]
	v_fmac_f64_e32 v[200:201], v[232:233], v[194:195]
	ds_write_b128 v1, v[198:201] offset:24576
	ds_read_b128 v[198:201], v1 offset:32768
	s_waitcnt vmcnt(8) lgkmcnt(2)
	v_mul_f64 v[2:3], v[188:189], v[192:193]
	v_mul_f64 v[196:197], v[186:187], v[192:193]
	v_fma_f64 v[194:195], v[186:187], v[190:191], -v[2:3]
	v_fmac_f64_e32 v[196:197], v[188:189], v[190:191]
	ds_read_b128 v[186:189], v1 offset:36864
	s_waitcnt vmcnt(7) lgkmcnt(1)
	v_mul_f64 v[2:3], v[200:201], v[208:209]
	v_mul_f64 v[192:193], v[198:199], v[208:209]
	ds_write_b128 v1, v[194:197] offset:28672
	v_fma_f64 v[190:191], v[198:199], v[206:207], -v[2:3]
	v_fmac_f64_e32 v[192:193], v[200:201], v[206:207]
	ds_read_b128 v[194:197], v1 offset:40960
	ds_write_b128 v1, v[190:193] offset:32768
	ds_write_b128 v1, v[248:251] offset:16384
	s_waitcnt vmcnt(6) lgkmcnt(4)
	v_mul_f64 v[2:3], v[188:189], v[204:205]
	v_mul_f64 v[192:193], v[186:187], v[204:205]
	v_fma_f64 v[190:191], v[186:187], v[202:203], -v[2:3]
	v_fmac_f64_e32 v[192:193], v[188:189], v[202:203]
	ds_read_b128 v[186:189], v1 offset:45056
	ds_write_b128 v1, v[190:193] offset:36864
	s_waitcnt vmcnt(5) lgkmcnt(4)
	v_mul_f64 v[2:3], v[196:197], v[220:221]
	v_mul_f64 v[192:193], v[194:195], v[220:221]
	v_fma_f64 v[190:191], v[194:195], v[218:219], -v[2:3]
	v_fmac_f64_e32 v[192:193], v[196:197], v[218:219]
	ds_read_b128 v[194:197], v1 offset:49152
	;; [unrolled: 7-line block ×5, first 2 shown]
	ds_write_b128 v1, v[190:193] offset:53248
	s_waitcnt vmcnt(1) lgkmcnt(3)
	v_mul_f64 v[2:3], v[196:197], v[238:239]
	v_mul_f64 v[192:193], v[194:195], v[238:239]
	v_fma_f64 v[190:191], v[194:195], v[236:237], -v[2:3]
	v_fmac_f64_e32 v[192:193], v[196:197], v[236:237]
	ds_write_b128 v1, v[190:193] offset:57344
	s_waitcnt vmcnt(0) lgkmcnt(2)
	v_mul_f64 v[2:3], v[188:189], v[242:243]
	v_mul_f64 v[192:193], v[186:187], v[242:243]
	v_fma_f64 v[190:191], v[186:187], v[240:241], -v[2:3]
	v_fmac_f64_e32 v[192:193], v[188:189], v[240:241]
	ds_write_b128 v1, v[190:193] offset:61440
	s_waitcnt lgkmcnt(0)
	s_barrier
	ds_read_b128 v[186:189], v1
	ds_read_b128 v[190:193], v1 offset:4096
	ds_read_b128 v[194:197], v1 offset:8192
	;; [unrolled: 1-line block ×13, first 2 shown]
	s_waitcnt lgkmcnt(5)
	v_add_f64 v[2:3], v[186:187], -v[218:219]
	v_add_f64 v[4:5], v[188:189], -v[220:221]
	v_fma_f64 v[6:7], v[186:187], 2.0, -v[2:3]
	v_fma_f64 v[8:9], v[188:189], 2.0, -v[4:5]
	s_waitcnt lgkmcnt(1)
	v_add_f64 v[10:11], v[202:203], -v[238:239]
	v_add_f64 v[12:13], v[204:205], -v[240:241]
	v_add_f64 v[18:19], v[194:195], -v[230:231]
	ds_read_b128 v[186:189], v1 offset:57344
	v_add_f64 v[20:21], v[196:197], -v[232:233]
	v_fma_f64 v[14:15], v[202:203], 2.0, -v[10:11]
	v_fma_f64 v[16:17], v[204:205], 2.0, -v[12:13]
	;; [unrolled: 1-line block ×4, first 2 shown]
	ds_read_b128 v[194:197], v1 offset:61440
	s_waitcnt lgkmcnt(1)
	v_add_f64 v[218:219], v[210:211], -v[186:187]
	v_add_f64 v[220:221], v[212:213], -v[188:189]
	v_fma_f64 v[186:187], v[210:211], 2.0, -v[218:219]
	v_fma_f64 v[188:189], v[212:213], 2.0, -v[220:221]
	v_add_f64 v[210:211], v[190:191], -v[226:227]
	v_add_f64 v[212:213], v[192:193], -v[228:229]
	;; [unrolled: 1-line block ×6, first 2 shown]
	s_waitcnt lgkmcnt(0)
	v_add_f64 v[238:239], v[214:215], -v[194:195]
	v_add_f64 v[240:241], v[216:217], -v[196:197]
	v_fma_f64 v[190:191], v[190:191], 2.0, -v[210:211]
	v_fma_f64 v[192:193], v[192:193], 2.0, -v[212:213]
	;; [unrolled: 1-line block ×8, first 2 shown]
	v_add_f64 v[198:199], v[202:203], -v[186:187]
	v_add_f64 v[200:201], v[204:205], -v[188:189]
	v_add_f64 v[194:195], v[6:7], -v[14:15]
	v_add_f64 v[196:197], v[8:9], -v[16:17]
	v_fma_f64 v[14:15], v[202:203], 2.0, -v[198:199]
	v_fma_f64 v[16:17], v[204:205], 2.0, -v[200:201]
	v_add_f64 v[202:203], v[190:191], -v[206:207]
	v_add_f64 v[204:205], v[192:193], -v[208:209]
	;; [unrolled: 1-line block ×4, first 2 shown]
	v_fma_f64 v[6:7], v[6:7], 2.0, -v[194:195]
	v_fma_f64 v[8:9], v[8:9], 2.0, -v[196:197]
	;; [unrolled: 1-line block ×6, first 2 shown]
	v_add_f64 v[190:191], v[6:7], -v[14:15]
	v_add_f64 v[192:193], v[8:9], -v[16:17]
	;; [unrolled: 1-line block ×4, first 2 shown]
	v_fma_f64 v[6:7], v[6:7], 2.0, -v[190:191]
	v_fma_f64 v[8:9], v[8:9], 2.0, -v[192:193]
	;; [unrolled: 1-line block ×4, first 2 shown]
	v_add_f64 v[186:187], v[6:7], -v[186:187]
	v_add_f64 v[188:189], v[8:9], -v[188:189]
	v_fma_f64 v[206:207], v[6:7], 2.0, -v[186:187]
	v_fma_f64 v[208:209], v[8:9], 2.0, -v[188:189]
	v_add_f64 v[6:7], v[2:3], v[12:13]
	v_add_f64 v[8:9], v[4:5], -v[10:11]
	v_add_f64 v[10:11], v[18:19], v[220:221]
	v_fma_f64 v[2:3], v[2:3], 2.0, -v[6:7]
	v_add_f64 v[12:13], v[20:21], -v[218:219]
	v_fma_f64 v[18:19], v[18:19], 2.0, -v[10:11]
	v_fma_f64 v[4:5], v[4:5], 2.0, -v[8:9]
	;; [unrolled: 1-line block ×3, first 2 shown]
	v_fma_f64 v[234:235], s[6:7], v[18:19], v[2:3]
	v_add_f64 v[218:219], v[210:211], v[228:229]
	v_add_f64 v[220:221], v[212:213], -v[226:227]
	v_fmac_f64_e32 v[234:235], s[8:9], v[20:21]
	v_fma_f64 v[20:21], s[6:7], v[20:21], v[4:5]
	s_barrier
	ds_write_b128 v223, v[206:209]
	v_fma_f64 v[206:207], v[210:211], 2.0, -v[218:219]
	v_fma_f64 v[208:209], v[212:213], 2.0, -v[220:221]
	v_add_f64 v[210:211], v[230:231], v[240:241]
	v_add_f64 v[212:213], v[232:233], -v[238:239]
	v_fmac_f64_e32 v[20:21], s[6:7], v[18:19]
	v_fma_f64 v[18:19], s[8:9], v[10:11], v[6:7]
	v_fma_f64 v[226:227], v[230:231], 2.0, -v[210:211]
	v_fma_f64 v[228:229], v[232:233], 2.0, -v[212:213]
	v_fmac_f64_e32 v[18:19], s[8:9], v[12:13]
	v_fma_f64 v[12:13], s[8:9], v[12:13], v[8:9]
	v_fmac_f64_e32 v[12:13], s[6:7], v[10:11]
	v_fma_f64 v[10:11], s[6:7], v[226:227], v[206:207]
	v_fma_f64 v[236:237], s[6:7], v[228:229], v[208:209]
	v_fmac_f64_e32 v[10:11], s[8:9], v[228:229]
	v_fmac_f64_e32 v[236:237], s[6:7], v[226:227]
	v_fma_f64 v[2:3], v[2:3], 2.0, -v[234:235]
	v_fma_f64 v[4:5], v[4:5], 2.0, -v[20:21]
	;; [unrolled: 1-line block ×4, first 2 shown]
	v_fma_f64 v[246:247], s[8:9], v[210:211], v[218:219]
	v_fma_f64 v[248:249], s[8:9], v[212:213], v[220:221]
	v_add_f64 v[242:243], v[194:195], v[200:201]
	v_add_f64 v[244:245], v[196:197], -v[198:199]
	v_add_f64 v[250:251], v[202:203], v[216:217]
	v_add_f64 v[252:253], v[204:205], -v[214:215]
	v_fmac_f64_e32 v[246:247], s[8:9], v[212:213]
	v_fmac_f64_e32 v[248:249], s[6:7], v[210:211]
	v_fma_f64 v[206:207], s[16:17], v[226:227], v[2:3]
	v_fma_f64 v[208:209], s[16:17], v[228:229], v[4:5]
	v_fma_f64 v[210:211], v[194:195], 2.0, -v[242:243]
	v_fma_f64 v[212:213], v[196:197], 2.0, -v[244:245]
	;; [unrolled: 1-line block ×4, first 2 shown]
	v_fmac_f64_e32 v[206:207], s[14:15], v[228:229]
	v_fmac_f64_e32 v[208:209], s[12:13], v[226:227]
	v_fma_f64 v[198:199], s[6:7], v[202:203], v[210:211]
	v_fma_f64 v[200:201], s[6:7], v[204:205], v[212:213]
	v_fma_f64 v[194:195], v[2:3], 2.0, -v[206:207]
	v_fma_f64 v[196:197], v[4:5], 2.0, -v[208:209]
	v_fmac_f64_e32 v[198:199], s[8:9], v[204:205]
	v_fma_f64 v[2:3], v[6:7], 2.0, -v[18:19]
	v_fma_f64 v[4:5], v[8:9], 2.0, -v[12:13]
	;; [unrolled: 1-line block ×4, first 2 shown]
	v_fmac_f64_e32 v[200:201], s[6:7], v[202:203]
	v_fma_f64 v[202:203], v[210:211], 2.0, -v[198:199]
	v_fma_f64 v[204:205], v[212:213], 2.0, -v[200:201]
	v_fma_f64 v[210:211], s[12:13], v[6:7], v[2:3]
	v_fma_f64 v[212:213], s[12:13], v[8:9], v[4:5]
	;; [unrolled: 1-line block ×4, first 2 shown]
	v_fmac_f64_e32 v[210:211], s[18:19], v[8:9]
	v_fmac_f64_e32 v[212:213], s[16:17], v[6:7]
	v_add_f64 v[218:219], v[190:191], v[16:17]
	v_add_f64 v[220:221], v[192:193], -v[14:15]
	v_fmac_f64_e32 v[230:231], s[18:19], v[236:237]
	v_fmac_f64_e32 v[232:233], s[16:17], v[10:11]
	v_fma_f64 v[238:239], s[8:9], v[250:251], v[242:243]
	v_fma_f64 v[240:241], s[8:9], v[252:253], v[244:245]
	ds_write_b128 v223, v[194:197] offset:16
	v_fma_f64 v[194:195], s[18:19], v[246:247], v[18:19]
	v_fma_f64 v[196:197], s[18:19], v[248:249], v[12:13]
	v_fma_f64 v[214:215], v[2:3], 2.0, -v[210:211]
	v_fma_f64 v[216:217], v[4:5], 2.0, -v[212:213]
	;; [unrolled: 1-line block ×6, first 2 shown]
	v_fmac_f64_e32 v[238:239], s[8:9], v[252:253]
	v_fmac_f64_e32 v[240:241], s[6:7], v[250:251]
	;; [unrolled: 1-line block ×4, first 2 shown]
	v_fma_f64 v[242:243], v[242:243], 2.0, -v[238:239]
	v_fma_f64 v[244:245], v[244:245], 2.0, -v[240:241]
	;; [unrolled: 1-line block ×4, first 2 shown]
	ds_write_b128 v223, v[202:205] offset:32
	ds_write_b128 v223, v[214:217] offset:48
	;; [unrolled: 1-line block ×14, first 2 shown]
	s_waitcnt lgkmcnt(0)
	s_barrier
	ds_read_b128 v[186:189], v1
	ds_read_b128 v[194:197], v1 offset:4096
	ds_read_b128 v[198:201], v1 offset:8192
	;; [unrolled: 1-line block ×11, first 2 shown]
	s_waitcnt lgkmcnt(10)
	v_mul_f64 v[2:3], v[80:81], v[196:197]
	v_mul_f64 v[4:5], v[80:81], v[194:195]
	v_fmac_f64_e32 v[2:3], v[78:79], v[194:195]
	v_fma_f64 v[4:5], v[78:79], v[196:197], -v[4:5]
	ds_read_b128 v[78:81], v1 offset:49152
	ds_read_b128 v[194:197], v1 offset:53248
	s_waitcnt lgkmcnt(11)
	v_mul_f64 v[6:7], v[76:77], v[200:201]
	v_mul_f64 v[8:9], v[76:77], v[198:199]
	s_waitcnt lgkmcnt(10)
	v_mul_f64 v[10:11], v[72:73], v[204:205]
	v_mul_f64 v[12:13], v[72:73], v[202:203]
	v_fmac_f64_e32 v[6:7], v[74:75], v[198:199]
	v_fma_f64 v[8:9], v[74:75], v[200:201], -v[8:9]
	v_fmac_f64_e32 v[10:11], v[70:71], v[202:203]
	v_fma_f64 v[12:13], v[70:71], v[204:205], -v[12:13]
	ds_read_b128 v[70:73], v1 offset:57344
	ds_read_b128 v[74:77], v1 offset:61440
	s_waitcnt lgkmcnt(10)
	v_mul_f64 v[18:19], v[96:97], v[212:213]
	v_mul_f64 v[20:21], v[96:97], v[210:211]
	v_fmac_f64_e32 v[18:19], v[94:95], v[210:211]
	v_fma_f64 v[20:21], v[94:95], v[212:213], -v[20:21]
	s_waitcnt lgkmcnt(5)
	v_mul_f64 v[94:95], v[108:109], v[236:237]
	v_mul_f64 v[96:97], v[108:109], v[234:235]
	v_fmac_f64_e32 v[94:95], v[106:107], v[234:235]
	v_fma_f64 v[96:97], v[106:107], v[236:237], -v[96:97]
	;; [unrolled: 5-line block ×3, first 2 shown]
	s_waitcnt lgkmcnt(3)
	v_mul_f64 v[104:105], v[100:101], v[80:81]
	v_mul_f64 v[14:15], v[68:69], v[208:209]
	;; [unrolled: 1-line block ×3, first 2 shown]
	v_fmac_f64_e32 v[104:105], v[98:99], v[78:79]
	v_mul_f64 v[78:79], v[100:101], v[78:79]
	s_waitcnt lgkmcnt(1)
	v_mul_f64 v[100:101], v[120:121], v[72:73]
	v_fmac_f64_e32 v[14:15], v[66:67], v[206:207]
	v_fma_f64 v[16:17], v[66:67], v[208:209], -v[16:17]
	v_mul_f64 v[66:67], v[92:93], v[216:217]
	v_mul_f64 v[68:69], v[92:93], v[214:215]
	v_fmac_f64_e32 v[100:101], v[118:119], v[70:71]
	v_mul_f64 v[70:71], v[120:121], v[70:71]
	v_fmac_f64_e32 v[66:67], v[90:91], v[214:215]
	v_fma_f64 v[68:69], v[90:91], v[216:217], -v[68:69]
	v_mul_f64 v[90:91], v[88:89], v[220:221]
	v_mul_f64 v[88:89], v[88:89], v[218:219]
	v_fma_f64 v[70:71], v[118:119], v[72:73], -v[70:71]
	s_waitcnt lgkmcnt(0)
	v_mul_f64 v[72:73], v[116:117], v[76:77]
	v_fmac_f64_e32 v[90:91], v[86:87], v[218:219]
	v_fma_f64 v[86:87], v[86:87], v[220:221], -v[88:89]
	v_mul_f64 v[88:89], v[84:85], v[228:229]
	v_mul_f64 v[84:85], v[84:85], v[226:227]
	;; [unrolled: 1-line block ×3, first 2 shown]
	v_fma_f64 v[78:79], v[98:99], v[80:81], -v[78:79]
	v_mul_f64 v[98:99], v[124:125], v[194:195]
	v_fmac_f64_e32 v[72:73], v[114:115], v[74:75]
	v_mul_f64 v[74:75], v[116:117], v[74:75]
	v_fmac_f64_e32 v[88:89], v[82:83], v[226:227]
	v_fma_f64 v[82:83], v[82:83], v[228:229], -v[84:85]
	v_mul_f64 v[84:85], v[112:113], v[232:233]
	v_fma_f64 v[92:93], v[110:111], v[232:233], -v[92:93]
	v_mul_f64 v[80:81], v[124:125], v[196:197]
	v_fma_f64 v[98:99], v[122:123], v[196:197], -v[98:99]
	v_fma_f64 v[74:75], v[114:115], v[76:77], -v[74:75]
	v_fmac_f64_e32 v[84:85], v[110:111], v[230:231]
	v_fmac_f64_e32 v[80:81], v[122:123], v[194:195]
	v_add_f64 v[82:83], v[188:189], -v[82:83]
	v_add_f64 v[78:79], v[16:17], -v[78:79]
	;; [unrolled: 1-line block ×8, first 2 shown]
	v_fma_f64 v[108:109], v[188:189], 2.0, -v[82:83]
	v_add_f64 v[104:105], v[14:15], -v[104:105]
	v_fma_f64 v[16:17], v[16:17], 2.0, -v[78:79]
	v_fma_f64 v[8:9], v[8:9], 2.0, -v[96:97]
	v_add_f64 v[100:101], v[66:67], -v[100:101]
	v_fma_f64 v[68:69], v[68:69], 2.0, -v[70:71]
	v_add_f64 v[84:85], v[2:3], -v[84:85]
	;; [unrolled: 2-line block ×7, first 2 shown]
	v_fma_f64 v[66:67], v[66:67], 2.0, -v[100:101]
	v_fma_f64 v[18:19], v[18:19], 2.0, -v[80:81]
	;; [unrolled: 1-line block ×3, first 2 shown]
	v_add_f64 v[16:17], v[108:109], -v[16:17]
	v_add_f64 v[104:105], v[82:83], -v[104:105]
	;; [unrolled: 1-line block ×5, first 2 shown]
	v_add_f64 v[98:99], v[84:85], v[98:99]
	v_add_f64 v[80:81], v[92:93], -v[80:81]
	v_add_f64 v[86:87], v[12:13], -v[86:87]
	v_add_f64 v[74:75], v[106:107], v[74:75]
	v_add_f64 v[72:73], v[102:103], -v[72:73]
	v_fma_f64 v[2:3], v[2:3], 2.0, -v[84:85]
	v_fma_f64 v[10:11], v[10:11], 2.0, -v[106:107]
	;; [unrolled: 1-line block ×3, first 2 shown]
	v_add_f64 v[78:79], v[76:77], v[78:79]
	v_fma_f64 v[82:83], v[82:83], 2.0, -v[104:105]
	v_fma_f64 v[8:9], v[8:9], 2.0, -v[68:69]
	v_add_f64 v[70:71], v[94:95], v[70:71]
	v_fma_f64 v[96:97], v[96:97], 2.0, -v[100:101]
	v_fma_f64 v[4:5], v[4:5], 2.0, -v[20:21]
	;; [unrolled: 1-line block ×11, first 2 shown]
	v_add_f64 v[8:9], v[108:109], -v[8:9]
	v_fma_f64 v[112:113], s[6:7], v[96:97], v[82:83]
	v_fma_f64 v[186:187], s[8:9], v[70:71], v[78:79]
	v_add_f64 v[12:13], v[4:5], -v[12:13]
	v_fma_f64 v[114:115], s[6:7], v[106:107], v[84:85]
	v_fma_f64 v[116:117], s[6:7], v[102:103], v[92:93]
	v_add_f64 v[14:15], v[88:89], -v[14:15]
	v_fma_f64 v[108:109], v[108:109], 2.0, -v[8:9]
	v_fma_f64 v[110:111], s[6:7], v[94:95], v[76:77]
	v_fmac_f64_e32 v[112:113], s[6:7], v[94:95]
	v_fma_f64 v[188:189], s[8:9], v[100:101], v[104:105]
	v_fmac_f64_e32 v[186:187], s[8:9], v[100:101]
	v_fma_f64 v[4:5], v[4:5], 2.0, -v[12:13]
	v_fmac_f64_e32 v[114:115], s[8:9], v[102:103]
	v_fmac_f64_e32 v[116:117], s[6:7], v[106:107]
	v_fma_f64 v[194:195], s[8:9], v[74:75], v[98:99]
	v_fma_f64 v[196:197], s[8:9], v[72:73], v[80:81]
	v_add_f64 v[66:67], v[6:7], -v[66:67]
	v_add_f64 v[18:19], v[2:3], -v[18:19]
	;; [unrolled: 1-line block ×3, first 2 shown]
	v_fmac_f64_e32 v[110:111], s[8:9], v[96:97]
	v_fma_f64 v[82:83], v[82:83], 2.0, -v[112:113]
	v_add_f64 v[118:119], v[14:15], v[68:69]
	v_fmac_f64_e32 v[188:189], s[6:7], v[70:71]
	v_fma_f64 v[96:97], v[78:79], 2.0, -v[186:187]
	v_fma_f64 v[78:79], v[84:85], 2.0, -v[114:115]
	;; [unrolled: 1-line block ×3, first 2 shown]
	v_fmac_f64_e32 v[194:195], s[8:9], v[72:73]
	v_fmac_f64_e32 v[196:197], s[6:7], v[74:75]
	v_add_f64 v[68:69], v[108:109], -v[4:5]
	v_fma_f64 v[88:89], v[88:89], 2.0, -v[14:15]
	v_fma_f64 v[6:7], v[6:7], 2.0, -v[66:67]
	;; [unrolled: 1-line block ×5, first 2 shown]
	v_add_f64 v[120:121], v[16:17], -v[66:67]
	v_fma_f64 v[100:101], v[104:105], 2.0, -v[188:189]
	v_add_f64 v[122:123], v[18:19], v[86:87]
	v_add_f64 v[124:125], v[20:21], -v[90:91]
	v_fma_f64 v[98:99], v[98:99], 2.0, -v[194:195]
	v_fma_f64 v[102:103], v[80:81], 2.0, -v[196:197]
	;; [unrolled: 1-line block ×3, first 2 shown]
	v_fma_f64 v[76:77], s[16:17], v[84:85], v[82:83]
	v_fma_f64 v[106:107], s[14:15], v[114:115], v[110:111]
	;; [unrolled: 1-line block ×3, first 2 shown]
	v_add_f64 v[6:7], v[88:89], -v[6:7]
	v_fma_f64 v[14:15], v[14:15], 2.0, -v[118:119]
	v_fma_f64 v[16:17], v[16:17], 2.0, -v[120:121]
	v_add_f64 v[10:11], v[2:3], -v[10:11]
	v_fma_f64 v[18:19], v[18:19], 2.0, -v[122:123]
	v_fma_f64 v[20:21], v[20:21], 2.0, -v[124:125]
	v_fma_f64 v[74:75], s[16:17], v[78:79], v[94:95]
	v_fmac_f64_e32 v[76:77], s[12:13], v[78:79]
	v_fma_f64 v[90:91], s[12:13], v[98:99], v[96:97]
	v_fma_f64 v[92:93], s[12:13], v[102:103], v[100:101]
	v_fmac_f64_e32 v[106:107], s[18:19], v[116:117]
	v_fmac_f64_e32 v[108:109], s[16:17], v[114:115]
	v_fma_f64 v[114:115], s[8:9], v[122:123], v[118:119]
	v_fma_f64 v[116:117], s[8:9], v[124:125], v[120:121]
	v_fma_f64 v[88:89], v[88:89], 2.0, -v[6:7]
	v_fma_f64 v[2:3], v[2:3], 2.0, -v[10:11]
	v_fmac_f64_e32 v[74:75], s[14:15], v[84:85]
	v_fma_f64 v[80:81], v[82:83], 2.0, -v[76:77]
	v_fma_f64 v[82:83], s[6:7], v[18:19], v[14:15]
	v_fma_f64 v[84:85], s[6:7], v[20:21], v[16:17]
	v_fmac_f64_e32 v[90:91], s[18:19], v[102:103]
	v_fmac_f64_e32 v[92:93], s[16:17], v[98:99]
	;; [unrolled: 1-line block ×4, first 2 shown]
	v_fma_f64 v[122:123], s[18:19], v[194:195], v[186:187]
	v_fma_f64 v[124:125], s[18:19], v[196:197], v[188:189]
	v_add_f64 v[66:67], v[88:89], -v[2:3]
	v_fma_f64 v[78:79], v[94:95], 2.0, -v[74:75]
	v_fmac_f64_e32 v[82:83], s[8:9], v[20:21]
	v_fmac_f64_e32 v[84:85], s[6:7], v[18:19]
	v_fma_f64 v[94:95], v[96:97], 2.0, -v[90:91]
	v_fma_f64 v[96:97], v[100:101], 2.0, -v[92:93]
	v_add_f64 v[98:99], v[6:7], v[12:13]
	v_add_f64 v[100:101], v[8:9], -v[10:11]
	v_fmac_f64_e32 v[122:123], s[14:15], v[196:197]
	v_fmac_f64_e32 v[124:125], s[12:13], v[194:195]
	v_fma_f64 v[70:71], v[88:89], 2.0, -v[66:67]
	v_fma_f64 v[86:87], v[14:15], 2.0, -v[82:83]
	;; [unrolled: 1-line block ×11, first 2 shown]
	s_barrier
	ds_write_b128 v224, v[70:73]
	ds_write_b128 v224, v[78:81] offset:256
	ds_write_b128 v224, v[86:89] offset:512
	;; [unrolled: 1-line block ×15, first 2 shown]
	s_waitcnt lgkmcnt(0)
	s_barrier
	ds_read_b128 v[66:69], v1
	ds_read_b128 v[70:73], v1 offset:4096
	ds_read_b128 v[74:77], v1 offset:8192
	;; [unrolled: 1-line block ×15, first 2 shown]
	s_waitcnt lgkmcnt(14)
	v_mul_f64 v[2:3], v[140:141], v[72:73]
	v_mul_f64 v[4:5], v[140:141], v[70:71]
	s_waitcnt lgkmcnt(13)
	v_mul_f64 v[6:7], v[136:137], v[76:77]
	v_mul_f64 v[8:9], v[136:137], v[74:75]
	s_waitcnt lgkmcnt(12)
	v_mul_f64 v[10:11], v[132:133], v[80:81]
	v_mul_f64 v[12:13], v[132:133], v[78:79]
	s_waitcnt lgkmcnt(11)
	v_mul_f64 v[14:15], v[128:129], v[84:85]
	v_mul_f64 v[16:17], v[128:129], v[82:83]
	s_waitcnt lgkmcnt(10)
	v_mul_f64 v[18:19], v[156:157], v[88:89]
	v_mul_f64 v[20:21], v[156:157], v[86:87]
	v_fmac_f64_e32 v[2:3], v[138:139], v[70:71]
	v_fma_f64 v[4:5], v[138:139], v[72:73], -v[4:5]
	v_fmac_f64_e32 v[6:7], v[134:135], v[74:75]
	v_fma_f64 v[8:9], v[134:135], v[76:77], -v[8:9]
	v_fmac_f64_e32 v[10:11], v[130:131], v[78:79]
	v_fma_f64 v[12:13], v[130:131], v[80:81], -v[12:13]
	v_fmac_f64_e32 v[14:15], v[126:127], v[82:83]
	v_fma_f64 v[16:17], v[126:127], v[84:85], -v[16:17]
	v_fmac_f64_e32 v[18:19], v[154:155], v[86:87]
	v_fma_f64 v[20:21], v[154:155], v[88:89], -v[20:21]
	s_waitcnt lgkmcnt(9)
	v_mul_f64 v[70:71], v[152:153], v[92:93]
	v_mul_f64 v[72:73], v[152:153], v[90:91]
	s_waitcnt lgkmcnt(8)
	v_mul_f64 v[74:75], v[148:149], v[96:97]
	v_mul_f64 v[76:77], v[148:149], v[94:95]
	s_waitcnt lgkmcnt(7)
	v_mul_f64 v[78:79], v[144:145], v[100:101]
	v_mul_f64 v[80:81], v[144:145], v[98:99]
	s_waitcnt lgkmcnt(6)
	v_mul_f64 v[82:83], v[172:173], v[104:105]
	v_mul_f64 v[84:85], v[172:173], v[102:103]
	s_waitcnt lgkmcnt(5)
	v_mul_f64 v[86:87], v[168:169], v[108:109]
	v_mul_f64 v[88:89], v[168:169], v[106:107]
	v_fmac_f64_e32 v[70:71], v[150:151], v[90:91]
	v_fma_f64 v[72:73], v[150:151], v[92:93], -v[72:73]
	v_fmac_f64_e32 v[74:75], v[146:147], v[94:95]
	v_fma_f64 v[76:77], v[146:147], v[96:97], -v[76:77]
	v_fmac_f64_e32 v[78:79], v[142:143], v[98:99]
	v_fma_f64 v[80:81], v[142:143], v[100:101], -v[80:81]
	v_fmac_f64_e32 v[82:83], v[170:171], v[102:103]
	v_fma_f64 v[84:85], v[170:171], v[104:105], -v[84:85]
	v_fmac_f64_e32 v[86:87], v[166:167], v[106:107]
	v_fma_f64 v[88:89], v[166:167], v[108:109], -v[88:89]
	;; [unrolled: 25-line block ×3, first 2 shown]
	v_add_f64 v[78:79], v[66:67], -v[78:79]
	v_add_f64 v[80:81], v[68:69], -v[80:81]
	;; [unrolled: 1-line block ×16, first 2 shown]
	v_fma_f64 v[66:67], v[66:67], 2.0, -v[78:79]
	v_fma_f64 v[68:69], v[68:69], 2.0, -v[80:81]
	;; [unrolled: 1-line block ×16, first 2 shown]
	v_add_f64 v[96:97], v[78:79], v[96:97]
	v_add_f64 v[94:95], v[80:81], -v[94:95]
	v_add_f64 v[104:105], v[86:87], v[104:105]
	v_add_f64 v[102:103], v[88:89], -v[102:103]
	;; [unrolled: 2-line block ×4, first 2 shown]
	v_add_f64 v[14:15], v[66:67], -v[14:15]
	v_add_f64 v[16:17], v[68:69], -v[16:17]
	v_fma_f64 v[78:79], v[78:79], 2.0, -v[96:97]
	v_fma_f64 v[80:81], v[80:81], 2.0, -v[94:95]
	v_add_f64 v[70:71], v[6:7], -v[70:71]
	v_add_f64 v[72:73], v[8:9], -v[72:73]
	v_fma_f64 v[86:87], v[86:87], 2.0, -v[104:105]
	v_fma_f64 v[88:89], v[88:89], 2.0, -v[102:103]
	;; [unrolled: 4-line block ×4, first 2 shown]
	v_fma_f64 v[66:67], v[66:67], 2.0, -v[14:15]
	v_fma_f64 v[68:69], v[68:69], 2.0, -v[16:17]
	;; [unrolled: 1-line block ×8, first 2 shown]
	v_fma_f64 v[114:115], s[6:7], v[86:87], v[78:79]
	v_fma_f64 v[116:117], s[6:7], v[88:89], v[80:81]
	v_fma_f64 v[122:123], s[6:7], v[90:91], v[82:83]
	v_fma_f64 v[124:125], s[6:7], v[92:93], v[84:85]
	v_add_f64 v[6:7], v[66:67], -v[6:7]
	v_add_f64 v[8:9], v[68:69], -v[8:9]
	v_fmac_f64_e32 v[114:115], s[8:9], v[88:89]
	v_fmac_f64_e32 v[116:117], s[6:7], v[86:87]
	v_fma_f64 v[126:127], s[8:9], v[104:105], v[96:97]
	v_fma_f64 v[128:129], s[8:9], v[102:103], v[94:95]
	v_add_f64 v[10:11], v[2:3], -v[10:11]
	v_add_f64 v[12:13], v[4:5], -v[12:13]
	v_fmac_f64_e32 v[122:123], s[8:9], v[92:93]
	v_fmac_f64_e32 v[124:125], s[6:7], v[90:91]
	v_fma_f64 v[134:135], s[8:9], v[108:109], v[100:101]
	v_fma_f64 v[136:137], s[8:9], v[106:107], v[98:99]
	v_fma_f64 v[110:111], v[66:67], 2.0, -v[6:7]
	v_fma_f64 v[112:113], v[68:69], 2.0, -v[8:9]
	;; [unrolled: 1-line block ×4, first 2 shown]
	v_add_f64 v[118:119], v[14:15], v[72:73]
	v_add_f64 v[120:121], v[16:17], -v[70:71]
	v_fmac_f64_e32 v[126:127], s[8:9], v[102:103]
	v_fmac_f64_e32 v[128:129], s[6:7], v[104:105]
	v_fma_f64 v[2:3], v[2:3], 2.0, -v[10:11]
	v_fma_f64 v[4:5], v[4:5], 2.0, -v[12:13]
	;; [unrolled: 1-line block ×4, first 2 shown]
	v_add_f64 v[130:131], v[18:19], v[76:77]
	v_add_f64 v[132:133], v[20:21], -v[74:75]
	v_fmac_f64_e32 v[134:135], s[8:9], v[106:107]
	v_fmac_f64_e32 v[136:137], s[6:7], v[108:109]
	v_fma_f64 v[106:107], s[14:15], v[122:123], v[114:115]
	v_fma_f64 v[108:109], s[14:15], v[124:125], v[116:117]
	v_fma_f64 v[14:15], v[14:15], 2.0, -v[118:119]
	v_fma_f64 v[16:17], v[16:17], 2.0, -v[120:121]
	;; [unrolled: 1-line block ×8, first 2 shown]
	v_add_f64 v[66:67], v[110:111], -v[2:3]
	v_add_f64 v[68:69], v[112:113], -v[4:5]
	v_fma_f64 v[74:75], s[16:17], v[82:83], v[78:79]
	v_fma_f64 v[76:77], s[16:17], v[84:85], v[80:81]
	v_fmac_f64_e32 v[106:107], s[18:19], v[124:125]
	v_fmac_f64_e32 v[108:109], s[16:17], v[122:123]
	v_fma_f64 v[70:71], v[110:111], 2.0, -v[66:67]
	v_fma_f64 v[72:73], v[112:113], 2.0, -v[68:69]
	v_fmac_f64_e32 v[74:75], s[14:15], v[84:85]
	v_fmac_f64_e32 v[76:77], s[12:13], v[82:83]
	v_fma_f64 v[82:83], s[6:7], v[18:19], v[14:15]
	v_fma_f64 v[84:85], s[6:7], v[20:21], v[16:17]
	;; [unrolled: 1-line block ×4, first 2 shown]
	v_fma_f64 v[110:111], v[114:115], 2.0, -v[106:107]
	v_fma_f64 v[112:113], v[116:117], 2.0, -v[108:109]
	v_fma_f64 v[114:115], s[8:9], v[130:131], v[118:119]
	v_fma_f64 v[116:117], s[8:9], v[132:133], v[120:121]
	;; [unrolled: 1-line block ×4, first 2 shown]
	v_fmac_f64_e32 v[82:83], s[8:9], v[20:21]
	v_fmac_f64_e32 v[84:85], s[6:7], v[18:19]
	;; [unrolled: 1-line block ×4, first 2 shown]
	v_add_f64 v[98:99], v[6:7], v[12:13]
	v_add_f64 v[100:101], v[8:9], -v[10:11]
	v_fmac_f64_e32 v[114:115], s[8:9], v[132:133]
	v_fmac_f64_e32 v[116:117], s[6:7], v[130:131]
	;; [unrolled: 1-line block ×4, first 2 shown]
	v_fma_f64 v[78:79], v[78:79], 2.0, -v[74:75]
	v_fma_f64 v[80:81], v[80:81], 2.0, -v[76:77]
	v_fma_f64 v[86:87], v[14:15], 2.0, -v[82:83]
	v_fma_f64 v[88:89], v[16:17], 2.0, -v[84:85]
	v_fma_f64 v[94:95], v[96:97], 2.0, -v[90:91]
	v_fma_f64 v[96:97], v[102:103], 2.0, -v[92:93]
	v_fma_f64 v[102:103], v[6:7], 2.0, -v[98:99]
	v_fma_f64 v[104:105], v[8:9], 2.0, -v[100:101]
	v_fma_f64 v[118:119], v[118:119], 2.0, -v[114:115]
	v_fma_f64 v[120:121], v[120:121], 2.0, -v[116:117]
	v_fma_f64 v[126:127], v[126:127], 2.0, -v[122:123]
	v_fma_f64 v[128:129], v[128:129], 2.0, -v[124:125]
	ds_write_b128 v1, v[70:73]
	ds_write_b128 v1, v[78:81] offset:4096
	ds_write_b128 v1, v[86:89] offset:8192
	;; [unrolled: 1-line block ×15, first 2 shown]
	s_waitcnt lgkmcnt(0)
	s_barrier
	ds_read_b128 v[66:69], v1
	ds_read_b128 v[70:73], v1 offset:4096
	v_mad_u64_u32 v[190:191], s[10:11], s2, v222, 0
	v_mov_b32_e32 v192, v191
	v_mad_u64_u32 v[2:3], s[2:3], s3, v222, v[192:193]
	v_mov_b32_e32 v191, v2
	s_waitcnt lgkmcnt(1)
	v_mul_f64 v[2:3], v[32:33], v[68:69]
	v_fmac_f64_e32 v[2:3], v[30:31], v[66:67]
	v_ldexp_f64 v[74:75], v[2:3], -12
	v_mul_f64 v[2:3], v[32:33], v[66:67]
	v_fma_f64 v[2:3], v[30:31], v[68:69], -v[2:3]
	v_ldexp_f64 v[76:77], v[2:3], -12
	v_mad_u64_u32 v[2:3], s[2:3], s0, v0, 0
	v_mov_b32_e32 v4, v3
	v_mad_u64_u32 v[4:5], s[2:3], s1, v0, v[4:5]
	v_mov_b32_e32 v3, v4
	v_lshlrev_b64 v[4:5], 4, v[190:191]
	v_mov_b32_e32 v0, s5
	v_add_co_u32_e32 v4, vcc, s4, v4
	v_addc_co_u32_e32 v0, vcc, v0, v5, vcc
	v_lshlrev_b64 v[2:3], 4, v[2:3]
	v_add_co_u32_e32 v2, vcc, v4, v2
	s_waitcnt lgkmcnt(0)
	v_mul_f64 v[4:5], v[60:61], v[72:73]
	v_fmac_f64_e32 v[4:5], v[58:59], v[70:71]
	v_ldexp_f64 v[30:31], v[4:5], -12
	v_mul_f64 v[4:5], v[60:61], v[70:71]
	v_fma_f64 v[4:5], v[58:59], v[72:73], -v[4:5]
	ds_read_b128 v[58:61], v1 offset:8192
	v_addc_co_u32_e32 v3, vcc, v0, v3, vcc
	s_lshl_b64 s[0:1], s[0:1], 12
	global_store_dwordx4 v[2:3], v[74:77], off
	v_mov_b32_e32 v16, s1
	v_add_co_u32_e32 v2, vcc, s0, v2
	v_ldexp_f64 v[32:33], v[4:5], -12
	v_addc_co_u32_e32 v3, vcc, v3, v16, vcc
	v_accvgpr_read_b32 v6, a16
	global_store_dwordx4 v[2:3], v[30:33], off
	ds_read_b128 v[30:33], v1 offset:12288
	v_accvgpr_read_b32 v8, a18
	v_accvgpr_read_b32 v9, a19
	;; [unrolled: 1-line block ×3, first 2 shown]
	s_waitcnt lgkmcnt(1)
	v_mul_f64 v[4:5], v[8:9], v[60:61]
	v_fmac_f64_e32 v[4:5], v[6:7], v[58:59]
	v_ldexp_f64 v[66:67], v[4:5], -12
	v_mul_f64 v[4:5], v[8:9], v[58:59]
	v_fma_f64 v[4:5], v[6:7], v[60:61], -v[4:5]
	v_add_co_u32_e32 v6, vcc, s0, v2
	v_ldexp_f64 v[68:69], v[4:5], -12
	v_addc_co_u32_e32 v7, vcc, v3, v16, vcc
	s_waitcnt lgkmcnt(0)
	v_mul_f64 v[2:3], v[64:65], v[32:33]
	v_mul_f64 v[4:5], v[64:65], v[30:31]
	v_fmac_f64_e32 v[2:3], v[62:63], v[30:31]
	v_fma_f64 v[4:5], v[62:63], v[32:33], -v[4:5]
	ds_read_b128 v[30:33], v1 offset:16384
	global_store_dwordx4 v[6:7], v[66:69], off
	v_add_co_u32_e32 v6, vcc, s0, v6
	v_ldexp_f64 v[2:3], v[2:3], -12
	v_ldexp_f64 v[4:5], v[4:5], -12
	v_addc_co_u32_e32 v7, vcc, v7, v16, vcc
	v_accvgpr_read_b32 v10, a12
	global_store_dwordx4 v[6:7], v[2:5], off
	ds_read_b128 v[2:5], v1 offset:20480
	v_accvgpr_read_b32 v12, a14
	v_accvgpr_read_b32 v13, a15
	;; [unrolled: 1-line block ×3, first 2 shown]
	s_waitcnt lgkmcnt(1)
	v_mul_f64 v[8:9], v[12:13], v[32:33]
	v_fmac_f64_e32 v[8:9], v[10:11], v[30:31]
	v_ldexp_f64 v[58:59], v[8:9], -12
	v_mul_f64 v[8:9], v[12:13], v[30:31]
	v_fma_f64 v[8:9], v[10:11], v[32:33], -v[8:9]
	v_add_co_u32_e32 v10, vcc, s0, v6
	v_addc_co_u32_e32 v11, vcc, v7, v16, vcc
	s_waitcnt lgkmcnt(0)
	v_mul_f64 v[6:7], v[36:37], v[4:5]
	v_fmac_f64_e32 v[6:7], v[34:35], v[2:3]
	v_mul_f64 v[2:3], v[36:37], v[2:3]
	v_fma_f64 v[2:3], v[34:35], v[4:5], -v[2:3]
	v_ldexp_f64 v[60:61], v[8:9], -12
	v_ldexp_f64 v[8:9], v[2:3], -12
	ds_read_b128 v[2:5], v1 offset:24576
	global_store_dwordx4 v[10:11], v[58:61], off
	v_add_co_u32_e32 v10, vcc, s0, v10
	v_ldexp_f64 v[6:7], v[6:7], -12
	v_addc_co_u32_e32 v11, vcc, v11, v16, vcc
	global_store_dwordx4 v[10:11], v[6:9], off
	ds_read_b128 v[6:9], v1 offset:28672
	v_accvgpr_read_b32 v21, a11
	v_accvgpr_read_b32 v20, a10
	;; [unrolled: 1-line block ×4, first 2 shown]
	s_waitcnt lgkmcnt(1)
	v_mul_f64 v[12:13], v[20:21], v[4:5]
	v_fmac_f64_e32 v[12:13], v[18:19], v[2:3]
	v_mul_f64 v[2:3], v[20:21], v[2:3]
	v_fma_f64 v[2:3], v[18:19], v[4:5], -v[2:3]
	v_ldexp_f64 v[32:33], v[2:3], -12
	v_add_co_u32_e32 v10, vcc, s0, v10
	s_waitcnt lgkmcnt(0)
	v_mul_f64 v[2:3], v[40:41], v[8:9]
	v_mul_f64 v[4:5], v[40:41], v[6:7]
	v_addc_co_u32_e32 v11, vcc, v11, v16, vcc
	v_fmac_f64_e32 v[2:3], v[38:39], v[6:7]
	v_fma_f64 v[4:5], v[38:39], v[8:9], -v[4:5]
	ds_read_b128 v[6:9], v1 offset:32768
	v_add_co_u32_e32 v14, vcc, s0, v10
	v_ldexp_f64 v[30:31], v[12:13], -12
	v_ldexp_f64 v[2:3], v[2:3], -12
	;; [unrolled: 1-line block ×3, first 2 shown]
	v_addc_co_u32_e32 v15, vcc, v11, v16, vcc
	global_store_dwordx4 v[10:11], v[30:33], off
	global_store_dwordx4 v[14:15], v[2:5], off
	ds_read_b128 v[2:5], v1 offset:36864
	v_accvgpr_read_b32 v21, a7
	v_accvgpr_read_b32 v20, a6
	;; [unrolled: 1-line block ×4, first 2 shown]
	s_waitcnt lgkmcnt(1)
	v_mul_f64 v[10:11], v[20:21], v[8:9]
	v_fmac_f64_e32 v[10:11], v[18:19], v[6:7]
	v_mul_f64 v[6:7], v[20:21], v[6:7]
	v_fma_f64 v[6:7], v[18:19], v[8:9], -v[6:7]
	v_ldexp_f64 v[12:13], v[6:7], -12
	s_waitcnt lgkmcnt(0)
	v_mul_f64 v[6:7], v[44:45], v[4:5]
	v_fmac_f64_e32 v[6:7], v[42:43], v[2:3]
	v_mul_f64 v[2:3], v[44:45], v[2:3]
	v_add_co_u32_e32 v14, vcc, s0, v14
	v_fma_f64 v[2:3], v[42:43], v[4:5], -v[2:3]
	v_ldexp_f64 v[10:11], v[10:11], -12
	v_addc_co_u32_e32 v15, vcc, v15, v16, vcc
	v_ldexp_f64 v[8:9], v[2:3], -12
	ds_read_b128 v[2:5], v1 offset:40960
	global_store_dwordx4 v[14:15], v[10:13], off
	v_add_co_u32_e32 v14, vcc, s0, v14
	v_ldexp_f64 v[6:7], v[6:7], -12
	v_addc_co_u32_e32 v15, vcc, v15, v16, vcc
	global_store_dwordx4 v[14:15], v[6:9], off
	ds_read_b128 v[6:9], v1 offset:45056
	v_accvgpr_read_b32 v21, a3
	v_accvgpr_read_b32 v20, a2
	;; [unrolled: 1-line block ×4, first 2 shown]
	s_waitcnt lgkmcnt(1)
	v_mul_f64 v[10:11], v[20:21], v[4:5]
	v_fmac_f64_e32 v[10:11], v[18:19], v[2:3]
	v_mul_f64 v[2:3], v[20:21], v[2:3]
	v_fma_f64 v[2:3], v[18:19], v[4:5], -v[2:3]
	v_ldexp_f64 v[12:13], v[2:3], -12
	v_add_co_u32_e32 v14, vcc, s0, v14
	s_waitcnt lgkmcnt(0)
	v_mul_f64 v[2:3], v[48:49], v[8:9]
	v_mul_f64 v[4:5], v[48:49], v[6:7]
	v_ldexp_f64 v[10:11], v[10:11], -12
	v_addc_co_u32_e32 v15, vcc, v15, v16, vcc
	v_fmac_f64_e32 v[2:3], v[46:47], v[6:7]
	v_fma_f64 v[4:5], v[46:47], v[8:9], -v[4:5]
	ds_read_b128 v[6:9], v1 offset:49152
	global_store_dwordx4 v[14:15], v[10:13], off
	v_add_co_u32_e32 v14, vcc, s0, v14
	v_ldexp_f64 v[2:3], v[2:3], -12
	v_ldexp_f64 v[4:5], v[4:5], -12
	v_addc_co_u32_e32 v15, vcc, v15, v16, vcc
	global_store_dwordx4 v[14:15], v[2:5], off
	ds_read_b128 v[2:5], v1 offset:53248
	s_waitcnt lgkmcnt(1)
	v_mul_f64 v[10:11], v[24:25], v[8:9]
	v_fmac_f64_e32 v[10:11], v[22:23], v[6:7]
	v_mul_f64 v[6:7], v[24:25], v[6:7]
	v_fma_f64 v[6:7], v[22:23], v[8:9], -v[6:7]
	v_ldexp_f64 v[12:13], v[6:7], -12
	s_waitcnt lgkmcnt(0)
	v_mul_f64 v[6:7], v[52:53], v[4:5]
	v_fmac_f64_e32 v[6:7], v[50:51], v[2:3]
	v_mul_f64 v[2:3], v[52:53], v[2:3]
	v_fma_f64 v[2:3], v[50:51], v[4:5], -v[2:3]
	v_add_co_u32_e32 v14, vcc, s0, v14
	v_ldexp_f64 v[8:9], v[2:3], -12
	ds_read_b128 v[2:5], v1 offset:57344
	v_ldexp_f64 v[10:11], v[10:11], -12
	v_addc_co_u32_e32 v15, vcc, v15, v16, vcc
	global_store_dwordx4 v[14:15], v[10:13], off
	v_ldexp_f64 v[6:7], v[6:7], -12
	v_add_co_u32_e32 v10, vcc, s0, v14
	v_addc_co_u32_e32 v11, vcc, v15, v16, vcc
	global_store_dwordx4 v[10:11], v[6:9], off
	ds_read_b128 v[6:9], v1 offset:61440
	s_waitcnt lgkmcnt(1)
	v_mul_f64 v[0:1], v[28:29], v[4:5]
	v_fmac_f64_e32 v[0:1], v[26:27], v[2:3]
	v_mul_f64 v[2:3], v[28:29], v[2:3]
	v_fma_f64 v[2:3], v[26:27], v[4:5], -v[2:3]
	v_add_co_u32_e32 v4, vcc, s0, v10
	v_ldexp_f64 v[0:1], v[0:1], -12
	v_ldexp_f64 v[2:3], v[2:3], -12
	v_addc_co_u32_e32 v5, vcc, v11, v16, vcc
	global_store_dwordx4 v[4:5], v[0:3], off
	v_add_co_u32_e32 v4, vcc, s0, v4
	s_waitcnt lgkmcnt(0)
	v_mul_f64 v[0:1], v[56:57], v[8:9]
	v_mul_f64 v[2:3], v[56:57], v[6:7]
	v_fmac_f64_e32 v[0:1], v[54:55], v[6:7]
	v_fma_f64 v[2:3], v[54:55], v[8:9], -v[2:3]
	v_ldexp_f64 v[0:1], v[0:1], -12
	v_ldexp_f64 v[2:3], v[2:3], -12
	v_addc_co_u32_e32 v5, vcc, v5, v16, vcc
	global_store_dwordx4 v[4:5], v[0:3], off
.LBB0_2:
	s_endpgm
	.section	.rodata,"a",@progbits
	.p2align	6, 0x0
	.amdhsa_kernel bluestein_single_fwd_len4096_dim1_dp_op_CI_CI
		.amdhsa_group_segment_fixed_size 65536
		.amdhsa_private_segment_fixed_size 0
		.amdhsa_kernarg_size 104
		.amdhsa_user_sgpr_count 6
		.amdhsa_user_sgpr_private_segment_buffer 1
		.amdhsa_user_sgpr_dispatch_ptr 0
		.amdhsa_user_sgpr_queue_ptr 0
		.amdhsa_user_sgpr_kernarg_segment_ptr 1
		.amdhsa_user_sgpr_dispatch_id 0
		.amdhsa_user_sgpr_flat_scratch_init 0
		.amdhsa_user_sgpr_kernarg_preload_length 0
		.amdhsa_user_sgpr_kernarg_preload_offset 0
		.amdhsa_user_sgpr_private_segment_size 0
		.amdhsa_uses_dynamic_stack 0
		.amdhsa_system_sgpr_private_segment_wavefront_offset 0
		.amdhsa_system_sgpr_workgroup_id_x 1
		.amdhsa_system_sgpr_workgroup_id_y 0
		.amdhsa_system_sgpr_workgroup_id_z 0
		.amdhsa_system_sgpr_workgroup_info 0
		.amdhsa_system_vgpr_workitem_id 0
		.amdhsa_next_free_vgpr 276
		.amdhsa_next_free_sgpr 23
		.amdhsa_accum_offset 256
		.amdhsa_reserve_vcc 1
		.amdhsa_reserve_flat_scratch 0
		.amdhsa_float_round_mode_32 0
		.amdhsa_float_round_mode_16_64 0
		.amdhsa_float_denorm_mode_32 3
		.amdhsa_float_denorm_mode_16_64 3
		.amdhsa_dx10_clamp 1
		.amdhsa_ieee_mode 1
		.amdhsa_fp16_overflow 0
		.amdhsa_tg_split 0
		.amdhsa_exception_fp_ieee_invalid_op 0
		.amdhsa_exception_fp_denorm_src 0
		.amdhsa_exception_fp_ieee_div_zero 0
		.amdhsa_exception_fp_ieee_overflow 0
		.amdhsa_exception_fp_ieee_underflow 0
		.amdhsa_exception_fp_ieee_inexact 0
		.amdhsa_exception_int_div_zero 0
	.end_amdhsa_kernel
	.text
.Lfunc_end0:
	.size	bluestein_single_fwd_len4096_dim1_dp_op_CI_CI, .Lfunc_end0-bluestein_single_fwd_len4096_dim1_dp_op_CI_CI
                                        ; -- End function
	.section	.AMDGPU.csdata,"",@progbits
; Kernel info:
; codeLenInByte = 14364
; NumSgprs: 27
; NumVgprs: 256
; NumAgprs: 20
; TotalNumVgprs: 276
; ScratchSize: 0
; MemoryBound: 0
; FloatMode: 240
; IeeeMode: 1
; LDSByteSize: 65536 bytes/workgroup (compile time only)
; SGPRBlocks: 3
; VGPRBlocks: 34
; NumSGPRsForWavesPerEU: 27
; NumVGPRsForWavesPerEU: 276
; AccumOffset: 256
; Occupancy: 1
; WaveLimiterHint : 1
; COMPUTE_PGM_RSRC2:SCRATCH_EN: 0
; COMPUTE_PGM_RSRC2:USER_SGPR: 6
; COMPUTE_PGM_RSRC2:TRAP_HANDLER: 0
; COMPUTE_PGM_RSRC2:TGID_X_EN: 1
; COMPUTE_PGM_RSRC2:TGID_Y_EN: 0
; COMPUTE_PGM_RSRC2:TGID_Z_EN: 0
; COMPUTE_PGM_RSRC2:TIDIG_COMP_CNT: 0
; COMPUTE_PGM_RSRC3_GFX90A:ACCUM_OFFSET: 63
; COMPUTE_PGM_RSRC3_GFX90A:TG_SPLIT: 0
	.text
	.p2alignl 6, 3212836864
	.fill 256, 4, 3212836864
	.type	__hip_cuid_c744b95079e14434,@object ; @__hip_cuid_c744b95079e14434
	.section	.bss,"aw",@nobits
	.globl	__hip_cuid_c744b95079e14434
__hip_cuid_c744b95079e14434:
	.byte	0                               ; 0x0
	.size	__hip_cuid_c744b95079e14434, 1

	.ident	"AMD clang version 19.0.0git (https://github.com/RadeonOpenCompute/llvm-project roc-6.4.0 25133 c7fe45cf4b819c5991fe208aaa96edf142730f1d)"
	.section	".note.GNU-stack","",@progbits
	.addrsig
	.addrsig_sym __hip_cuid_c744b95079e14434
	.amdgpu_metadata
---
amdhsa.kernels:
  - .agpr_count:     20
    .args:
      - .actual_access:  read_only
        .address_space:  global
        .offset:         0
        .size:           8
        .value_kind:     global_buffer
      - .actual_access:  read_only
        .address_space:  global
        .offset:         8
        .size:           8
        .value_kind:     global_buffer
      - .actual_access:  read_only
        .address_space:  global
        .offset:         16
        .size:           8
        .value_kind:     global_buffer
      - .actual_access:  read_only
        .address_space:  global
        .offset:         24
        .size:           8
        .value_kind:     global_buffer
      - .actual_access:  read_only
        .address_space:  global
        .offset:         32
        .size:           8
        .value_kind:     global_buffer
      - .offset:         40
        .size:           8
        .value_kind:     by_value
      - .address_space:  global
        .offset:         48
        .size:           8
        .value_kind:     global_buffer
      - .address_space:  global
        .offset:         56
        .size:           8
        .value_kind:     global_buffer
      - .address_space:  global
        .offset:         64
        .size:           8
        .value_kind:     global_buffer
      - .address_space:  global
        .offset:         72
        .size:           8
        .value_kind:     global_buffer
      - .offset:         80
        .size:           4
        .value_kind:     by_value
      - .address_space:  global
        .offset:         88
        .size:           8
        .value_kind:     global_buffer
      - .address_space:  global
        .offset:         96
        .size:           8
        .value_kind:     global_buffer
    .group_segment_fixed_size: 65536
    .kernarg_segment_align: 8
    .kernarg_segment_size: 104
    .language:       OpenCL C
    .language_version:
      - 2
      - 0
    .max_flat_workgroup_size: 256
    .name:           bluestein_single_fwd_len4096_dim1_dp_op_CI_CI
    .private_segment_fixed_size: 0
    .sgpr_count:     27
    .sgpr_spill_count: 0
    .symbol:         bluestein_single_fwd_len4096_dim1_dp_op_CI_CI.kd
    .uniform_work_group_size: 1
    .uses_dynamic_stack: false
    .vgpr_count:     276
    .vgpr_spill_count: 0
    .wavefront_size: 64
amdhsa.target:   amdgcn-amd-amdhsa--gfx90a
amdhsa.version:
  - 1
  - 2
...

	.end_amdgpu_metadata
